;; amdgpu-corpus repo=ROCm/rocFFT kind=compiled arch=gfx1201 opt=O3
	.text
	.amdgcn_target "amdgcn-amd-amdhsa--gfx1201"
	.amdhsa_code_object_version 6
	.protected	fft_rtc_back_len240_factors_2_3_4_5_2_wgs_140_tpt_20_dim3_sp_ip_CI_sbcc_twdbase8_3step_dirReg ; -- Begin function fft_rtc_back_len240_factors_2_3_4_5_2_wgs_140_tpt_20_dim3_sp_ip_CI_sbcc_twdbase8_3step_dirReg
	.globl	fft_rtc_back_len240_factors_2_3_4_5_2_wgs_140_tpt_20_dim3_sp_ip_CI_sbcc_twdbase8_3step_dirReg
	.p2align	8
	.type	fft_rtc_back_len240_factors_2_3_4_5_2_wgs_140_tpt_20_dim3_sp_ip_CI_sbcc_twdbase8_3step_dirReg,@function
fft_rtc_back_len240_factors_2_3_4_5_2_wgs_140_tpt_20_dim3_sp_ip_CI_sbcc_twdbase8_3step_dirReg: ; @fft_rtc_back_len240_factors_2_3_4_5_2_wgs_140_tpt_20_dim3_sp_ip_CI_sbcc_twdbase8_3step_dirReg
; %bb.0:
	s_load_b128 s[8:11], s[0:1], 0x10
	s_mov_b32 s3, 0
	s_mov_b32 s4, 0x92481000
	s_movk_i32 s5, 0x64
	s_mov_b32 s2, s3
	s_delay_alu instid0(SALU_CYCLE_1) | instskip(NEXT) | instid1(SALU_CYCLE_1)
	s_add_nc_u64 s[4:5], s[2:3], s[4:5]
	s_add_co_i32 s5, s5, 0x249248c0
	s_delay_alu instid0(SALU_CYCLE_1) | instskip(NEXT) | instid1(SALU_CYCLE_1)
	s_mul_u64 s[6:7], s[4:5], -7
	s_mul_hi_u32 s15, s4, s7
	s_mul_i32 s14, s4, s7
	s_mul_hi_u32 s2, s4, s6
	s_mul_i32 s17, s5, s6
	s_add_nc_u64 s[14:15], s[2:3], s[14:15]
	s_mul_hi_u32 s16, s5, s6
	s_mul_hi_u32 s18, s5, s7
	s_add_co_u32 s2, s14, s17
	s_wait_kmcnt 0x0
	s_load_b64 s[12:13], s[8:9], 0x8
	s_add_co_ci_u32 s2, s15, s16
	s_mul_i32 s6, s5, s7
	s_add_co_ci_u32 s7, s18, 0
	s_delay_alu instid0(SALU_CYCLE_1) | instskip(NEXT) | instid1(SALU_CYCLE_1)
	s_add_nc_u64 s[6:7], s[2:3], s[6:7]
	v_add_co_u32 v1, s2, s4, s6
	s_delay_alu instid0(VALU_DEP_1) | instskip(SKIP_1) | instid1(VALU_DEP_1)
	s_cmp_lg_u32 s2, 0
	s_add_co_ci_u32 s14, s5, s7
	v_readfirstlane_b32 s15, v1
	s_wait_kmcnt 0x0
	s_add_nc_u64 s[4:5], s[12:13], -1
	s_wait_alu 0xfffe
	s_mul_hi_u32 s7, s4, s14
	s_mul_i32 s6, s4, s14
	s_mul_hi_u32 s2, s4, s15
	s_mul_hi_u32 s17, s5, s15
	s_mul_i32 s15, s5, s15
	s_wait_alu 0xfffe
	s_add_nc_u64 s[6:7], s[2:3], s[6:7]
	s_mul_hi_u32 s16, s5, s14
	s_wait_alu 0xfffe
	s_add_co_u32 s2, s6, s15
	s_add_co_ci_u32 s2, s7, s17
	s_mul_i32 s14, s5, s14
	s_add_co_ci_u32 s15, s16, 0
	s_delay_alu instid0(SALU_CYCLE_1) | instskip(SKIP_2) | instid1(SALU_CYCLE_1)
	s_add_nc_u64 s[6:7], s[2:3], s[14:15]
	s_wait_alu 0xfffe
	s_mul_u64 s[14:15], s[6:7], 7
	v_sub_co_u32 v1, s2, s4, s14
	s_delay_alu instid0(VALU_DEP_1) | instskip(SKIP_1) | instid1(VALU_DEP_1)
	s_cmp_lg_u32 s2, 0
	s_sub_co_ci_u32 s16, s5, s15
	v_sub_co_u32 v2, s4, v1, 7
	s_delay_alu instid0(VALU_DEP_1) | instskip(SKIP_2) | instid1(VALU_DEP_2)
	s_cmp_lg_u32 s4, 0
	v_readfirstlane_b32 s17, v1
	s_sub_co_ci_u32 s14, s16, 0
	v_readfirstlane_b32 s2, v2
	s_add_nc_u64 s[4:5], s[6:7], 1
	s_delay_alu instid0(VALU_DEP_1)
	s_cmp_gt_u32 s2, 6
	s_cselect_b32 s2, -1, 0
	s_wait_alu 0xfffe
	s_cmp_eq_u32 s14, 0
	s_add_nc_u64 s[14:15], s[6:7], 2
	s_cselect_b32 s2, s2, -1
	s_delay_alu instid0(SALU_CYCLE_1)
	s_cmp_lg_u32 s2, 0
	s_wait_alu 0xfffe
	s_cselect_b32 s2, s14, s4
	s_cselect_b32 s4, s15, s5
	s_cmp_gt_u32 s17, 6
	s_cselect_b32 s5, -1, 0
	s_cmp_eq_u32 s16, 0
	s_mov_b64 s[16:17], 0
	s_wait_alu 0xfffe
	s_cselect_b32 s5, s5, -1
	s_wait_alu 0xfffe
	s_cmp_lg_u32 s5, 0
	s_cselect_b32 s5, s4, s7
	s_cselect_b32 s4, s2, s6
	s_mov_b32 s2, ttmp9
	s_wait_alu 0xfffe
	s_add_nc_u64 s[14:15], s[4:5], 1
	s_wait_alu 0xfffe
	v_cmp_lt_u64_e64 s4, s[2:3], s[14:15]
	s_delay_alu instid0(VALU_DEP_1)
	s_and_b32 vcc_lo, exec_lo, s4
	s_cbranch_vccnz .LBB0_2
; %bb.1:
	v_cvt_f32_u32_e32 v1, s14
	s_sub_co_i32 s5, 0, s14
	s_mov_b32 s17, s3
	s_delay_alu instid0(VALU_DEP_1) | instskip(NEXT) | instid1(TRANS32_DEP_1)
	v_rcp_iflag_f32_e32 v1, v1
	v_mul_f32_e32 v1, 0x4f7ffffe, v1
	s_delay_alu instid0(VALU_DEP_1) | instskip(NEXT) | instid1(VALU_DEP_1)
	v_cvt_u32_f32_e32 v1, v1
	v_readfirstlane_b32 s4, v1
	s_wait_alu 0xfffe
	s_delay_alu instid0(VALU_DEP_1)
	s_mul_i32 s5, s5, s4
	s_wait_alu 0xfffe
	s_mul_hi_u32 s5, s4, s5
	s_wait_alu 0xfffe
	s_add_co_i32 s4, s4, s5
	s_wait_alu 0xfffe
	s_mul_hi_u32 s4, s2, s4
	s_wait_alu 0xfffe
	s_mul_i32 s5, s4, s14
	s_add_co_i32 s6, s4, 1
	s_wait_alu 0xfffe
	s_sub_co_i32 s5, s2, s5
	s_wait_alu 0xfffe
	s_sub_co_i32 s7, s5, s14
	s_cmp_ge_u32 s5, s14
	s_cselect_b32 s4, s6, s4
	s_wait_alu 0xfffe
	s_cselect_b32 s5, s7, s5
	s_add_co_i32 s6, s4, 1
	s_wait_alu 0xfffe
	s_cmp_ge_u32 s5, s14
	s_cselect_b32 s16, s6, s4
.LBB0_2:
	s_load_b64 s[20:21], s[8:9], 0x10
	s_mov_b64 s[8:9], s[16:17]
	s_wait_kmcnt 0x0
	v_cmp_lt_u64_e64 s4, s[16:17], s[20:21]
	s_delay_alu instid0(VALU_DEP_1)
	s_and_b32 vcc_lo, exec_lo, s4
	s_cbranch_vccnz .LBB0_4
; %bb.3:
	v_cvt_f32_u32_e32 v1, s20
	s_sub_co_i32 s5, 0, s20
	s_mov_b32 s9, 0
	s_delay_alu instid0(VALU_DEP_1) | instskip(NEXT) | instid1(TRANS32_DEP_1)
	v_rcp_iflag_f32_e32 v1, v1
	v_mul_f32_e32 v1, 0x4f7ffffe, v1
	s_delay_alu instid0(VALU_DEP_1) | instskip(NEXT) | instid1(VALU_DEP_1)
	v_cvt_u32_f32_e32 v1, v1
	v_readfirstlane_b32 s4, v1
	s_wait_alu 0xfffe
	s_delay_alu instid0(VALU_DEP_1)
	s_mul_i32 s5, s5, s4
	s_wait_alu 0xfffe
	s_mul_hi_u32 s5, s4, s5
	s_wait_alu 0xfffe
	s_add_co_i32 s4, s4, s5
	s_wait_alu 0xfffe
	s_mul_hi_u32 s4, s16, s4
	s_wait_alu 0xfffe
	s_mul_i32 s4, s4, s20
	s_wait_alu 0xfffe
	s_sub_co_i32 s4, s16, s4
	s_wait_alu 0xfffe
	s_sub_co_i32 s5, s4, s20
	s_cmp_ge_u32 s4, s20
	s_wait_alu 0xfffe
	s_cselect_b32 s4, s5, s4
	s_wait_alu 0xfffe
	s_sub_co_i32 s5, s4, s20
	s_cmp_ge_u32 s4, s20
	s_wait_alu 0xfffe
	s_cselect_b32 s8, s5, s4
.LBB0_4:
	s_clause 0x1
	s_load_b128 s[4:7], s[10:11], 0x0
	s_load_b64 s[18:19], s[10:11], 0x10
	s_mul_u64 s[22:23], s[20:21], s[14:15]
	s_delay_alu instid0(SALU_CYCLE_1) | instskip(NEXT) | instid1(VALU_DEP_1)
	v_cmp_lt_u64_e64 s20, s[2:3], s[22:23]
	s_and_b32 vcc_lo, exec_lo, s20
	s_mov_b64 s[20:21], 0
	s_cbranch_vccnz .LBB0_6
; %bb.5:
	v_cvt_f32_u32_e32 v1, s22
	s_sub_co_i32 s21, 0, s22
	s_delay_alu instid0(VALU_DEP_1) | instskip(NEXT) | instid1(TRANS32_DEP_1)
	v_rcp_iflag_f32_e32 v1, v1
	v_mul_f32_e32 v1, 0x4f7ffffe, v1
	s_delay_alu instid0(VALU_DEP_1) | instskip(NEXT) | instid1(VALU_DEP_1)
	v_cvt_u32_f32_e32 v1, v1
	v_readfirstlane_b32 s20, v1
	s_wait_alu 0xfffe
	s_delay_alu instid0(VALU_DEP_1)
	s_mul_i32 s21, s21, s20
	s_wait_alu 0xfffe
	s_mul_hi_u32 s21, s20, s21
	s_wait_alu 0xfffe
	s_add_co_i32 s20, s20, s21
	s_wait_alu 0xfffe
	s_mul_hi_u32 s20, s2, s20
	s_wait_alu 0xfffe
	s_mul_i32 s21, s20, s22
	s_add_co_i32 s23, s20, 1
	s_wait_alu 0xfffe
	s_sub_co_i32 s21, s2, s21
	s_wait_alu 0xfffe
	s_sub_co_i32 s24, s21, s22
	s_cmp_ge_u32 s21, s22
	s_cselect_b32 s20, s23, s20
	s_cselect_b32 s21, s24, s21
	s_wait_alu 0xfffe
	s_add_co_i32 s23, s20, 1
	s_cmp_ge_u32 s21, s22
	s_mov_b32 s21, 0
	s_wait_alu 0xfffe
	s_cselect_b32 s20, s23, s20
.LBB0_6:
	v_mul_u32_u24_e32 v1, 0x2493, v0
	s_load_b64 s[22:23], s[10:11], 0x18
	s_mul_u64 s[10:11], s[16:17], s[14:15]
	s_wait_kmcnt 0x0
	s_mul_u64 s[8:9], s[18:19], s[8:9]
	s_sub_nc_u64 s[14:15], s[2:3], s[10:11]
	v_lshrrev_b32_e32 v39, 16, v1
	s_clause 0x1
	s_load_b64 s[10:11], s[0:1], 0x0
	s_load_b64 s[2:3], s[0:1], 0x50
	s_mul_u64 s[16:17], s[14:15], 7
	s_wait_alu 0xfffe
	s_mul_u64 s[14:15], s[6:7], s[16:17]
	v_mul_lo_u16 v1, v39, 7
	s_add_nc_u64 s[18:19], s[16:17], 7
	s_wait_alu 0xfffe
	s_add_nc_u64 s[8:9], s[8:9], s[14:15]
	v_cmp_gt_u64_e64 s15, s[18:19], s[12:13]
	v_cmp_le_u64_e64 s14, s[18:19], s[12:13]
	v_sub_nc_u16 v1, v0, v1
	s_delay_alu instid0(VALU_DEP_3) | instskip(NEXT) | instid1(VALU_DEP_1)
	s_and_b32 vcc_lo, exec_lo, s15
	v_and_b32_e32 v34, 0xffff, v1
	s_mul_u64 s[18:19], s[22:23], s[20:21]
	s_wait_alu 0xfffe
	s_add_nc_u64 s[8:9], s[18:19], s[8:9]
	s_delay_alu instid0(VALU_DEP_1)
	v_add_co_u32 v17, s16, s16, v34
	s_wait_alu 0xf1ff
	v_add_co_ci_u32_e64 v18, null, s17, 0, s16
	s_cbranch_vccz .LBB0_12
; %bb.7:
	s_mov_b32 s15, exec_lo
                                        ; implicit-def: $vgpr33
                                        ; implicit-def: $vgpr35
                                        ; implicit-def: $vgpr36
                                        ; implicit-def: $vgpr37
                                        ; implicit-def: $vgpr38
	s_delay_alu instid0(VALU_DEP_1)
	v_cmpx_le_u64_e64 s[12:13], v[17:18]
	s_wait_alu 0xfffe
	s_xor_b32 s15, exec_lo, s15
; %bb.8:
	v_add_nc_u32_e32 v33, 20, v39
	v_add_nc_u32_e32 v35, 40, v39
	;; [unrolled: 1-line block ×5, first 2 shown]
; %bb.9:
	s_wait_alu 0xfffe
	s_or_saveexec_b32 s15, s15
                                        ; implicit-def: $vgpr1
                                        ; implicit-def: $vgpr19
                                        ; implicit-def: $vgpr13
                                        ; implicit-def: $vgpr9
                                        ; implicit-def: $vgpr15
                                        ; implicit-def: $vgpr11
                                        ; implicit-def: $vgpr21
                                        ; implicit-def: $vgpr25
                                        ; implicit-def: $vgpr23
                                        ; implicit-def: $vgpr3
                                        ; implicit-def: $vgpr7
                                        ; implicit-def: $vgpr5
	s_wait_alu 0xfffe
	s_xor_b32 exec_lo, exec_lo, s15
	s_cbranch_execz .LBB0_11
; %bb.10:
	v_mad_co_u64_u32 v[1:2], null, s6, v34, 0
	v_mad_co_u64_u32 v[3:4], null, s4, v39, 0
	v_add_nc_u32_e32 v15, 0x8c, v39
	s_lshl_b64 s[16:17], s[8:9], 3
	v_add_nc_u32_e32 v35, 40, v39
	s_wait_kmcnt 0x0
	s_wait_alu 0xfffe
	s_add_nc_u64 s[16:17], s[2:3], s[16:17]
	v_add_nc_u32_e32 v23, 0xa0, v39
	v_add_nc_u32_e32 v37, 0x50, v39
	v_mad_co_u64_u32 v[5:6], null, s7, v34, v[2:3]
	v_add_nc_u32_e32 v13, 0x78, v39
	v_add_nc_u32_e32 v36, 60, v39
	;; [unrolled: 1-line block ×4, first 2 shown]
	v_mov_b32_e32 v2, v5
	v_mad_co_u64_u32 v[10:11], null, s5, v39, v[4:5]
	v_add_nc_u32_e32 v33, 20, v39
	v_mad_co_u64_u32 v[6:7], null, s4, v13, 0
	s_delay_alu instid0(VALU_DEP_4)
	v_lshlrev_b64_e32 v[1:2], 3, v[1:2]
	v_mad_co_u64_u32 v[11:12], null, s4, v15, 0
	v_mov_b32_e32 v4, v10
	v_mad_co_u64_u32 v[8:9], null, s4, v33, 0
	v_mov_b32_e32 v5, v7
	s_wait_alu 0xfffe
	v_add_co_u32 v43, vcc_lo, s16, v1
	v_lshlrev_b64_e32 v[3:4], 3, v[3:4]
	v_add_co_ci_u32_e32 v44, vcc_lo, s17, v2, vcc_lo
	v_mov_b32_e32 v7, v9
	v_mad_co_u64_u32 v[9:10], null, s5, v13, v[5:6]
	s_delay_alu instid0(VALU_DEP_4) | instskip(NEXT) | instid1(VALU_DEP_3)
	v_add_co_u32 v1, vcc_lo, v43, v3
	v_mad_co_u64_u32 v[13:14], null, s5, v33, v[7:8]
	s_wait_alu 0xfffd
	v_add_co_ci_u32_e32 v2, vcc_lo, v44, v4, vcc_lo
	s_delay_alu instid0(VALU_DEP_4) | instskip(SKIP_3) | instid1(VALU_DEP_4)
	v_mov_b32_e32 v7, v9
	v_mov_b32_e32 v3, v12
	v_mad_co_u64_u32 v[21:22], null, s4, v36, 0
	v_mov_b32_e32 v9, v13
	v_lshlrev_b64_e32 v[4:5], 3, v[6:7]
	s_delay_alu instid0(VALU_DEP_1) | instskip(NEXT) | instid1(VALU_DEP_3)
	v_mad_co_u64_u32 v[6:7], null, s5, v15, v[3:4]
	v_lshlrev_b64_e32 v[7:8], 3, v[8:9]
	v_mad_co_u64_u32 v[9:10], null, s4, v35, 0
	v_add_co_u32 v3, vcc_lo, v43, v4
	s_wait_alu 0xfffd
	v_add_co_ci_u32_e32 v4, vcc_lo, v44, v5, vcc_lo
	v_mov_b32_e32 v12, v6
	v_add_co_u32 v13, vcc_lo, v43, v7
	v_mov_b32_e32 v5, v10
	s_wait_alu 0xfffd
	v_add_co_ci_u32_e32 v14, vcc_lo, v44, v8, vcc_lo
	v_lshlrev_b64_e32 v[6:7], 3, v[11:12]
	v_mad_co_u64_u32 v[11:12], null, s4, v23, 0
	s_delay_alu instid0(VALU_DEP_2) | instskip(SKIP_1) | instid1(VALU_DEP_3)
	v_mad_co_u64_u32 v[15:16], null, s5, v35, v[5:6]
	v_add_co_u32 v19, vcc_lo, v43, v6
	v_mov_b32_e32 v5, v12
	s_wait_alu 0xfffd
	v_add_co_ci_u32_e32 v20, vcc_lo, v44, v7, vcc_lo
	s_delay_alu instid0(VALU_DEP_4) | instskip(NEXT) | instid1(VALU_DEP_3)
	v_mov_b32_e32 v10, v15
	v_mad_co_u64_u32 v[15:16], null, s5, v23, v[5:6]
	s_clause 0x3
	global_load_b64 v[5:6], v[1:2], off
	global_load_b64 v[7:8], v[3:4], off
	;; [unrolled: 1-line block ×4, first 2 shown]
	v_dual_mov_b32 v13, v22 :: v_dual_add_nc_u32 v16, 0xb4, v39
	v_mad_co_u64_u32 v[19:20], null, s4, v37, 0
	v_mad_co_u64_u32 v[23:24], null, s4, v28, 0
	s_delay_alu instid0(VALU_DEP_3) | instskip(SKIP_3) | instid1(VALU_DEP_3)
	v_mad_co_u64_u32 v[13:14], null, s5, v36, v[13:14]
	v_mov_b32_e32 v12, v15
	v_mad_co_u64_u32 v[14:15], null, s4, v16, 0
	v_lshlrev_b64_e32 v[9:10], 3, v[9:10]
	v_lshlrev_b64_e32 v[11:12], 3, v[11:12]
	s_delay_alu instid0(VALU_DEP_3) | instskip(NEXT) | instid1(VALU_DEP_3)
	v_dual_mov_b32 v22, v13 :: v_dual_mov_b32 v13, v15
	v_add_co_u32 v9, vcc_lo, v43, v9
	s_wait_alu 0xfffd
	s_delay_alu instid0(VALU_DEP_4) | instskip(NEXT) | instid1(VALU_DEP_3)
	v_add_co_ci_u32_e32 v10, vcc_lo, v44, v10, vcc_lo
	v_mad_co_u64_u32 v[15:16], null, s5, v16, v[13:14]
	v_dual_mov_b32 v13, v20 :: v_dual_add_nc_u32 v16, 0xdc, v39
	v_lshlrev_b64_e32 v[20:21], 3, v[21:22]
	v_add_co_u32 v11, vcc_lo, v43, v11
	s_wait_alu 0xfffd
	v_add_co_ci_u32_e32 v12, vcc_lo, v44, v12, vcc_lo
	v_mad_co_u64_u32 v[25:26], null, s5, v37, v[13:14]
	v_mov_b32_e32 v13, v24
	v_mad_co_u64_u32 v[26:27], null, s4, v38, 0
	v_add_co_u32 v31, vcc_lo, v43, v20
	s_delay_alu instid0(VALU_DEP_3)
	v_mad_co_u64_u32 v[28:29], null, s5, v28, v[13:14]
	v_mad_co_u64_u32 v[29:30], null, s4, v16, 0
	v_lshlrev_b64_e32 v[14:15], 3, v[14:15]
	v_mov_b32_e32 v13, v27
	s_wait_alu 0xfffd
	v_add_co_ci_u32_e32 v32, vcc_lo, v44, v21, vcc_lo
	v_mov_b32_e32 v20, v25
	v_mov_b32_e32 v24, v28
	v_mad_co_u64_u32 v[21:22], null, s5, v38, v[13:14]
	v_mov_b32_e32 v13, v30
	v_add_co_u32 v14, vcc_lo, v43, v14
	v_lshlrev_b64_e32 v[19:20], 3, v[19:20]
	s_wait_alu 0xfffd
	v_add_co_ci_u32_e32 v15, vcc_lo, v44, v15, vcc_lo
	s_delay_alu instid0(VALU_DEP_3)
	v_mad_co_u64_u32 v[40:41], null, s5, v16, v[13:14]
	v_mov_b32_e32 v27, v21
	v_lshlrev_b64_e32 v[22:23], 3, v[23:24]
	v_add_co_u32 v41, vcc_lo, v43, v19
	s_wait_alu 0xfffd
	v_add_co_ci_u32_e32 v42, vcc_lo, v44, v20, vcc_lo
	v_mov_b32_e32 v30, v40
	v_lshlrev_b64_e32 v[19:20], 3, v[26:27]
	v_add_co_u32 v27, vcc_lo, v43, v22
	s_wait_alu 0xfffd
	v_add_co_ci_u32_e32 v28, vcc_lo, v44, v23, vcc_lo
	v_lshlrev_b64_e32 v[21:22], 3, v[29:30]
	s_delay_alu instid0(VALU_DEP_4) | instskip(SKIP_2) | instid1(VALU_DEP_3)
	v_add_co_u32 v29, vcc_lo, v43, v19
	s_wait_alu 0xfffd
	v_add_co_ci_u32_e32 v30, vcc_lo, v44, v20, vcc_lo
	v_add_co_u32 v43, vcc_lo, v43, v21
	s_wait_alu 0xfffd
	v_add_co_ci_u32_e32 v44, vcc_lo, v44, v22, vcc_lo
	s_clause 0x7
	global_load_b64 v[23:24], v[9:10], off
	global_load_b64 v[25:26], v[11:12], off
	;; [unrolled: 1-line block ×8, first 2 shown]
.LBB0_11:
	s_or_b32 exec_lo, exec_lo, s15
	s_cbranch_execz .LBB0_13
	s_branch .LBB0_14
.LBB0_12:
                                        ; implicit-def: $vgpr1
                                        ; implicit-def: $vgpr19
                                        ; implicit-def: $vgpr13
                                        ; implicit-def: $vgpr9
                                        ; implicit-def: $vgpr15
                                        ; implicit-def: $vgpr11
                                        ; implicit-def: $vgpr21
                                        ; implicit-def: $vgpr25
                                        ; implicit-def: $vgpr23
                                        ; implicit-def: $vgpr3
                                        ; implicit-def: $vgpr7
                                        ; implicit-def: $vgpr5
                                        ; implicit-def: $vgpr33
                                        ; implicit-def: $vgpr35
                                        ; implicit-def: $vgpr36
                                        ; implicit-def: $vgpr37
                                        ; implicit-def: $vgpr38
.LBB0_13:
	s_wait_loadcnt 0x8
	v_mad_co_u64_u32 v[1:2], null, s6, v34, 0
	v_mad_co_u64_u32 v[3:4], null, s4, v39, 0
	s_wait_loadcnt 0x2
	v_add_nc_u32_e32 v15, 0x8c, v39
	s_lshl_b64 s[16:17], s[8:9], 3
	v_add_nc_u32_e32 v35, 40, v39
	s_wait_kmcnt 0x0
	s_wait_alu 0xfffe
	s_add_nc_u64 s[16:17], s[2:3], s[16:17]
	v_add_nc_u32_e32 v23, 0xa0, v39
	v_add_nc_u32_e32 v37, 0x50, v39
	v_mad_co_u64_u32 v[5:6], null, s7, v34, v[2:3]
	s_wait_loadcnt 0x0
	v_add_nc_u32_e32 v13, 0x78, v39
	v_add_nc_u32_e32 v36, 60, v39
	;; [unrolled: 1-line block ×4, first 2 shown]
	v_mov_b32_e32 v2, v5
	v_mad_co_u64_u32 v[10:11], null, s5, v39, v[4:5]
	v_add_nc_u32_e32 v33, 20, v39
	v_mad_co_u64_u32 v[6:7], null, s4, v13, 0
	s_delay_alu instid0(VALU_DEP_4)
	v_lshlrev_b64_e32 v[1:2], 3, v[1:2]
	v_mad_co_u64_u32 v[11:12], null, s4, v15, 0
	v_mov_b32_e32 v4, v10
	v_mad_co_u64_u32 v[8:9], null, s4, v33, 0
	v_mov_b32_e32 v5, v7
	s_wait_alu 0xfffe
	v_add_co_u32 v43, vcc_lo, s16, v1
	v_lshlrev_b64_e32 v[3:4], 3, v[3:4]
	s_wait_alu 0xfffd
	v_add_co_ci_u32_e32 v44, vcc_lo, s17, v2, vcc_lo
	v_mov_b32_e32 v7, v9
	v_mad_co_u64_u32 v[9:10], null, s5, v13, v[5:6]
	s_delay_alu instid0(VALU_DEP_4) | instskip(NEXT) | instid1(VALU_DEP_3)
	v_add_co_u32 v1, vcc_lo, v43, v3
	v_mad_co_u64_u32 v[13:14], null, s5, v33, v[7:8]
	s_wait_alu 0xfffd
	v_add_co_ci_u32_e32 v2, vcc_lo, v44, v4, vcc_lo
	s_delay_alu instid0(VALU_DEP_4) | instskip(SKIP_3) | instid1(VALU_DEP_4)
	v_mov_b32_e32 v7, v9
	v_mov_b32_e32 v3, v12
	v_mad_co_u64_u32 v[21:22], null, s4, v36, 0
	v_mov_b32_e32 v9, v13
	v_lshlrev_b64_e32 v[4:5], 3, v[6:7]
	s_delay_alu instid0(VALU_DEP_1) | instskip(NEXT) | instid1(VALU_DEP_3)
	v_mad_co_u64_u32 v[6:7], null, s5, v15, v[3:4]
	v_lshlrev_b64_e32 v[7:8], 3, v[8:9]
	v_mad_co_u64_u32 v[9:10], null, s4, v35, 0
	v_add_co_u32 v3, vcc_lo, v43, v4
	s_wait_alu 0xfffd
	v_add_co_ci_u32_e32 v4, vcc_lo, v44, v5, vcc_lo
	v_mov_b32_e32 v12, v6
	v_add_co_u32 v13, vcc_lo, v43, v7
	v_mov_b32_e32 v5, v10
	s_wait_alu 0xfffd
	v_add_co_ci_u32_e32 v14, vcc_lo, v44, v8, vcc_lo
	v_lshlrev_b64_e32 v[6:7], 3, v[11:12]
	v_mad_co_u64_u32 v[11:12], null, s4, v23, 0
	s_delay_alu instid0(VALU_DEP_2) | instskip(SKIP_1) | instid1(VALU_DEP_3)
	v_mad_co_u64_u32 v[15:16], null, s5, v35, v[5:6]
	v_add_co_u32 v19, vcc_lo, v43, v6
	v_mov_b32_e32 v5, v12
	s_wait_alu 0xfffd
	v_add_co_ci_u32_e32 v20, vcc_lo, v44, v7, vcc_lo
	s_delay_alu instid0(VALU_DEP_4) | instskip(NEXT) | instid1(VALU_DEP_3)
	v_mov_b32_e32 v10, v15
	v_mad_co_u64_u32 v[15:16], null, s5, v23, v[5:6]
	s_clause 0x3
	global_load_b64 v[5:6], v[1:2], off
	global_load_b64 v[7:8], v[3:4], off
	;; [unrolled: 1-line block ×4, first 2 shown]
	v_dual_mov_b32 v13, v22 :: v_dual_add_nc_u32 v16, 0xb4, v39
	v_mad_co_u64_u32 v[19:20], null, s4, v37, 0
	v_mad_co_u64_u32 v[23:24], null, s4, v28, 0
	s_delay_alu instid0(VALU_DEP_3) | instskip(SKIP_3) | instid1(VALU_DEP_3)
	v_mad_co_u64_u32 v[13:14], null, s5, v36, v[13:14]
	v_mov_b32_e32 v12, v15
	v_mad_co_u64_u32 v[14:15], null, s4, v16, 0
	v_lshlrev_b64_e32 v[9:10], 3, v[9:10]
	v_lshlrev_b64_e32 v[11:12], 3, v[11:12]
	s_delay_alu instid0(VALU_DEP_3) | instskip(NEXT) | instid1(VALU_DEP_3)
	v_dual_mov_b32 v22, v13 :: v_dual_mov_b32 v13, v15
	v_add_co_u32 v9, vcc_lo, v43, v9
	s_wait_alu 0xfffd
	s_delay_alu instid0(VALU_DEP_4) | instskip(NEXT) | instid1(VALU_DEP_3)
	v_add_co_ci_u32_e32 v10, vcc_lo, v44, v10, vcc_lo
	v_mad_co_u64_u32 v[15:16], null, s5, v16, v[13:14]
	v_dual_mov_b32 v13, v20 :: v_dual_add_nc_u32 v16, 0xdc, v39
	v_lshlrev_b64_e32 v[20:21], 3, v[21:22]
	v_add_co_u32 v11, vcc_lo, v43, v11
	s_wait_alu 0xfffd
	v_add_co_ci_u32_e32 v12, vcc_lo, v44, v12, vcc_lo
	v_mad_co_u64_u32 v[25:26], null, s5, v37, v[13:14]
	v_mov_b32_e32 v13, v24
	v_mad_co_u64_u32 v[26:27], null, s4, v38, 0
	v_add_co_u32 v31, vcc_lo, v43, v20
	s_delay_alu instid0(VALU_DEP_3)
	v_mad_co_u64_u32 v[28:29], null, s5, v28, v[13:14]
	v_mad_co_u64_u32 v[29:30], null, s4, v16, 0
	v_lshlrev_b64_e32 v[14:15], 3, v[14:15]
	v_mov_b32_e32 v13, v27
	s_wait_alu 0xfffd
	v_add_co_ci_u32_e32 v32, vcc_lo, v44, v21, vcc_lo
	v_mov_b32_e32 v20, v25
	v_mov_b32_e32 v24, v28
	v_mad_co_u64_u32 v[21:22], null, s5, v38, v[13:14]
	v_mov_b32_e32 v13, v30
	v_add_co_u32 v14, vcc_lo, v43, v14
	v_lshlrev_b64_e32 v[19:20], 3, v[19:20]
	s_wait_alu 0xfffd
	v_add_co_ci_u32_e32 v15, vcc_lo, v44, v15, vcc_lo
	s_delay_alu instid0(VALU_DEP_3)
	v_mad_co_u64_u32 v[40:41], null, s5, v16, v[13:14]
	v_mov_b32_e32 v27, v21
	v_lshlrev_b64_e32 v[22:23], 3, v[23:24]
	v_add_co_u32 v41, vcc_lo, v43, v19
	s_wait_alu 0xfffd
	v_add_co_ci_u32_e32 v42, vcc_lo, v44, v20, vcc_lo
	v_mov_b32_e32 v30, v40
	v_lshlrev_b64_e32 v[19:20], 3, v[26:27]
	v_add_co_u32 v27, vcc_lo, v43, v22
	s_wait_alu 0xfffd
	v_add_co_ci_u32_e32 v28, vcc_lo, v44, v23, vcc_lo
	v_lshlrev_b64_e32 v[21:22], 3, v[29:30]
	s_delay_alu instid0(VALU_DEP_4) | instskip(SKIP_2) | instid1(VALU_DEP_3)
	v_add_co_u32 v29, vcc_lo, v43, v19
	s_wait_alu 0xfffd
	v_add_co_ci_u32_e32 v30, vcc_lo, v44, v20, vcc_lo
	v_add_co_u32 v43, vcc_lo, v43, v21
	s_wait_alu 0xfffd
	v_add_co_ci_u32_e32 v44, vcc_lo, v44, v22, vcc_lo
	s_clause 0x7
	global_load_b64 v[23:24], v[9:10], off
	global_load_b64 v[25:26], v[11:12], off
	;; [unrolled: 1-line block ×8, first 2 shown]
.LBB0_14:
	s_wait_loadcnt 0xa
	v_dual_sub_f32 v7, v5, v7 :: v_dual_sub_f32 v8, v6, v8
	s_wait_loadcnt 0x2
	v_dual_sub_f32 v15, v11, v15 :: v_dual_lshlrev_b32 v40, 3, v34
	v_mul_u32_u24_e32 v27, 0x70, v39
	v_dual_sub_f32 v1, v3, v1 :: v_dual_sub_f32 v2, v4, v2
	v_fma_f32 v5, v5, 2.0, -v7
	v_fma_f32 v6, v6, 2.0, -v8
	s_delay_alu instid0(VALU_DEP_4)
	v_add3_u32 v27, 0, v27, v40
	v_mul_i32_i24_e32 v28, 0x70, v33
	v_fma_f32 v3, v3, 2.0, -v1
	v_dual_sub_f32 v25, v23, v25 :: v_dual_sub_f32 v26, v24, v26
	v_fma_f32 v4, v4, 2.0, -v2
	ds_store_2addr_b64 v27, v[5:6], v[7:8] offset1:7
	v_add3_u32 v5, 0, v28, v40
	v_mul_i32_i24_e32 v6, 0x70, v35
	v_dual_sub_f32 v19, v21, v19 :: v_dual_sub_f32 v20, v22, v20
	v_mul_i32_i24_e32 v7, 0x70, v36
	s_wait_loadcnt 0x0
	v_dual_sub_f32 v16, v12, v16 :: v_dual_sub_f32 v13, v9, v13
	v_mul_i32_i24_e32 v8, 0x70, v37
	v_sub_f32_e32 v14, v10, v14
	v_mul_i32_i24_e32 v27, 0x70, v38
	v_fma_f32 v23, v23, 2.0, -v25
	v_fma_f32 v24, v24, 2.0, -v26
	ds_store_2addr_b64 v5, v[3:4], v[1:2] offset1:7
	v_add3_u32 v1, 0, v6, v40
	v_and_b32_e32 v6, 1, v39
	v_fma_f32 v21, v21, 2.0, -v19
	v_fma_f32 v22, v22, 2.0, -v20
	v_add3_u32 v2, 0, v7, v40
	v_fma_f32 v11, v11, 2.0, -v15
	v_fma_f32 v12, v12, 2.0, -v16
	v_add3_u32 v5, 0, v8, v40
	;; [unrolled: 3-line block ×3, first 2 shown]
	ds_store_2addr_b64 v1, v[23:24], v[25:26] offset1:7
	ds_store_2addr_b64 v2, v[21:22], v[19:20] offset1:7
	;; [unrolled: 1-line block ×4, first 2 shown]
	v_lshlrev_b32_e32 v1, 4, v6
	global_wb scope:SCOPE_SE
	s_wait_dscnt 0x0
	s_wait_kmcnt 0x0
	s_barrier_signal -1
	s_barrier_wait -1
	global_inv scope:SCOPE_SE
	global_load_b128 v[1:4], v1, s[10:11]
	v_mul_u32_u24_e32 v7, 56, v39
	v_mul_i32_i24_e32 v8, 56, v33
	v_mul_i32_i24_e32 v9, 56, v35
	;; [unrolled: 1-line block ×3, first 2 shown]
	v_lshrrev_b32_e32 v12, 1, v33
	v_lshrrev_b32_e32 v13, 1, v35
	;; [unrolled: 1-line block ×4, first 2 shown]
	v_add3_u32 v41, 0, v7, v40
	v_mul_lo_u16 v47, v39, 43
	v_add3_u32 v42, 0, v8, v40
	v_add3_u32 v43, 0, v9, v40
	;; [unrolled: 1-line block ×3, first 2 shown]
	v_mul_lo_u32 v8, v12, 6
	v_mul_lo_u32 v9, v13, 6
	;; [unrolled: 1-line block ×3, first 2 shown]
	v_and_b32_e32 v15, 0xff, v33
	v_and_b32_e32 v16, 0xff, v35
	v_mul_u32_u24_e32 v7, 6, v11
	v_add_nc_u32_e32 v61, 0x1c00, v41
	v_lshrrev_b16 v53, 8, v47
	v_add_nc_u32_e32 v62, 0x1400, v41
	v_add_nc_u32_e32 v13, 0x2400, v41
	v_mad_i32_i24 v45, 0xffffffc8, v37, v5
	v_mul_lo_u16 v48, 0xab, v15
	v_mul_lo_u16 v46, 0xab, v16
	ds_load_b64 v[19:20], v41
	ds_load_b64 v[21:22], v43
	ds_load_b64 v[23:24], v44
	v_or_b32_e32 v31, v7, v6
	v_or_b32_e32 v49, v8, v6
	;; [unrolled: 1-line block ×4, first 2 shown]
	ds_load_2addr_b64 v[5:8], v61 offset0:84 offset1:224
	ds_load_b64 v[25:26], v42
	ds_load_2addr_b64 v[9:12], v62 offset0:60 offset1:200
	ds_load_2addr_b64 v[13:16], v13 offset0:108 offset1:248
	ds_load_b64 v[27:28], v45
	ds_load_b64 v[29:30], v41 offset:12320
	v_mul_lo_u16 v32, v53, 6
	v_lshrrev_b16 v54, 10, v48
	v_lshrrev_b16 v55, 10, v46
	v_mul_lo_u32 v49, v49, 56
	v_mul_lo_u32 v50, v50, 56
	v_sub_nc_u16 v32, v39, v32
	v_mul_lo_u16 v52, v54, 6
	v_mul_lo_u16 v56, v55, 6
	v_mul_lo_u32 v51, v51, 56
	v_mul_u32_u24_e32 v31, 56, v31
	v_and_b32_e32 v57, 0xff, v32
	v_sub_nc_u16 v32, v33, v52
	v_sub_nc_u16 v52, v35, v56
	global_wb scope:SCOPE_SE
	s_wait_loadcnt_dscnt 0x0
	v_add3_u32 v31, 0, v31, v40
	s_barrier_signal -1
	v_and_b32_e32 v58, 0xff, v32
	v_add3_u32 v32, 0, v49, v40
	v_add3_u32 v49, 0, v50, v40
	;; [unrolled: 1-line block ×3, first 2 shown]
	v_and_b32_e32 v59, 0xff, v52
	s_barrier_wait -1
	global_inv scope:SCOPE_SE
	v_cmp_gt_u32_e32 vcc_lo, 56, v0
	v_mul_f32_e32 v68, v4, v13
	v_mul_f32_e32 v66, v2, v9
	v_mul_u32_u24_e32 v56, 3, v57
	v_dual_mul_f32 v60, v2, v27 :: v_dual_mul_f32 v63, v4, v8
	v_dual_mul_f32 v64, v4, v7 :: v_dual_mul_f32 v65, v2, v10
	s_delay_alu instid0(VALU_DEP_3)
	v_dual_mul_f32 v70, v2, v11 :: v_dual_lshlrev_b32 v51, 3, v56
	v_dual_mul_f32 v56, v2, v28 :: v_dual_mul_f32 v67, v4, v14
	v_dual_mul_f32 v69, v2, v12 :: v_dual_mul_f32 v72, v4, v15
	v_mul_f32_e32 v71, v4, v16
	v_mul_f32_e32 v73, v2, v6
	;; [unrolled: 1-line block ×3, first 2 shown]
	v_dual_mul_f32 v74, v30, v4 :: v_dual_fmac_f32 v63, v3, v7
	v_dual_mul_f32 v4, v29, v4 :: v_dual_fmac_f32 v67, v3, v13
	v_fma_f32 v7, v3, v8, -v64
	v_fma_f32 v8, v1, v10, -v66
	v_fmac_f32_e32 v56, v1, v27
	v_fma_f32 v27, v1, v28, -v60
	v_fma_f32 v10, v1, v12, -v70
	v_fmac_f32_e32 v73, v1, v5
	v_fma_f32 v12, v30, v3, -v4
	v_mul_u32_u24_e32 v52, 3, v58
	v_add_f32_e32 v4, v20, v27
	v_fmac_f32_e32 v74, v29, v3
	v_sub_f32_e32 v13, v27, v7
	v_add_f32_e32 v5, v27, v7
	v_add_f32_e32 v27, v26, v8
	v_fmac_f32_e32 v65, v1, v9
	v_fma_f32 v9, v3, v14, -v68
	v_fmac_f32_e32 v69, v1, v11
	v_fma_f32 v11, v3, v16, -v72
	v_fma_f32 v1, v1, v6, -v2
	v_add_f32_e32 v2, v19, v56
	v_dual_sub_f32 v16, v8, v9 :: v_dual_fmac_f32 v71, v3, v15
	v_dual_add_f32 v6, v25, v65 :: v_dual_add_f32 v3, v56, v63
	v_dual_add_f32 v60, v22, v10 :: v_dual_add_f32 v15, v65, v67
	v_add_f32_e32 v8, v8, v9
	v_dual_sub_f32 v28, v65, v67 :: v_dual_add_f32 v65, v23, v73
	s_delay_alu instid0(VALU_DEP_4)
	v_fma_f32 v19, -0.5, v3, v19
	v_add_f32_e32 v30, v69, v71
	v_dual_sub_f32 v14, v56, v63 :: v_dual_add_f32 v29, v21, v69
	v_sub_f32_e32 v56, v10, v11
	v_add_f32_e32 v10, v10, v11
	v_add_f32_e32 v66, v73, v74
	v_dual_add_f32 v70, v1, v12 :: v_dual_add_f32 v3, v6, v67
	v_fmac_f32_e32 v20, -0.5, v5
	v_sub_f32_e32 v68, v1, v12
	v_fma_f32 v25, -0.5, v15, v25
	v_dual_sub_f32 v64, v69, v71 :: v_dual_add_f32 v69, v24, v1
	v_add_f32_e32 v1, v2, v63
	v_add_f32_e32 v2, v4, v7
	v_dual_add_f32 v4, v27, v9 :: v_dual_add_f32 v5, v29, v71
	v_add_f32_e32 v7, v65, v74
	v_fmamk_f32 v9, v13, 0xbf5db3d7, v19
	v_fmac_f32_e32 v19, 0x3f5db3d7, v13
	v_fma_f32 v21, -0.5, v30, v21
	v_fmac_f32_e32 v26, -0.5, v8
	v_fma_f32 v23, -0.5, v66, v23
	v_fmac_f32_e32 v22, -0.5, v10
	v_sub_f32_e32 v72, v73, v74
	v_fmac_f32_e32 v24, -0.5, v70
	v_fmamk_f32 v10, v14, 0x3f5db3d7, v20
	v_fmac_f32_e32 v20, 0xbf5db3d7, v14
	v_add_f32_e32 v6, v60, v11
	v_dual_add_f32 v8, v69, v12 :: v_dual_fmamk_f32 v11, v16, 0xbf5db3d7, v25
	v_fmamk_f32 v13, v56, 0xbf5db3d7, v21
	v_dual_fmamk_f32 v12, v28, 0x3f5db3d7, v26 :: v_dual_fmac_f32 v25, 0x3f5db3d7, v16
	v_dual_fmac_f32 v26, 0xbf5db3d7, v28 :: v_dual_fmamk_f32 v15, v68, 0xbf5db3d7, v23
	v_dual_fmamk_f32 v14, v64, 0x3f5db3d7, v22 :: v_dual_fmac_f32 v21, 0x3f5db3d7, v56
	v_fmac_f32_e32 v22, 0xbf5db3d7, v64
	v_dual_fmac_f32 v23, 0x3f5db3d7, v68 :: v_dual_fmamk_f32 v16, v72, 0x3f5db3d7, v24
	v_fmac_f32_e32 v24, 0xbf5db3d7, v72
	ds_store_2addr_b64 v31, v[1:2], v[9:10] offset1:14
	ds_store_b64 v31, v[19:20] offset:224
	ds_store_2addr_b64 v32, v[3:4], v[11:12] offset1:14
	ds_store_b64 v32, v[25:26] offset:224
	;; [unrolled: 2-line block ×4, first 2 shown]
	global_wb scope:SCOPE_SE
	s_wait_dscnt 0x0
	s_barrier_signal -1
	s_barrier_wait -1
	global_inv scope:SCOPE_SE
	global_load_b128 v[1:4], v51, s[10:11] offset:32
	v_lshlrev_b32_e32 v9, 3, v52
	s_clause 0x1
	global_load_b64 v[31:32], v51, s[10:11] offset:48
	global_load_b128 v[5:8], v9, s[10:11] offset:32
	v_mul_u32_u24_e32 v10, 3, v59
	v_and_b32_e32 v15, 0xffff, v54
	v_and_b32_e32 v16, 0xffff, v55
	v_add_nc_u32_e32 v19, 0x2000, v41
	s_delay_alu instid0(VALU_DEP_4)
	v_lshlrev_b32_e32 v13, 3, v10
	s_clause 0x2
	global_load_b64 v[49:50], v9, s[10:11] offset:48
	global_load_b128 v[9:12], v13, s[10:11] offset:32
	global_load_b64 v[51:52], v13, s[10:11] offset:48
	v_and_b32_e32 v14, 0xffff, v53
	ds_load_b64 v[53:54], v44
	v_add_nc_u32_e32 v13, 0x1800, v41
	v_mul_u32_u24_e32 v16, 24, v16
	v_mul_u32_u24_e32 v14, 24, v14
	s_delay_alu instid0(VALU_DEP_2) | instskip(NEXT) | instid1(VALU_DEP_2)
	v_or_b32_e32 v28, v16, v59
	v_or_b32_e32 v20, v14, v57
	s_delay_alu instid0(VALU_DEP_2) | instskip(NEXT) | instid1(VALU_DEP_2)
	v_mul_u32_u24_e32 v56, 56, v28
	v_mul_u32_u24_e32 v29, 56, v20
	ds_load_2addr_b64 v[19:22], v19 offset0:96 offset1:236
	v_add3_u32 v67, 0, v56, v40
	v_add3_u32 v65, 0, v29, v40
	s_wait_loadcnt_dscnt 0x501
	v_mul_f32_e32 v68, v2, v54
	v_mul_f32_e32 v2, v2, v53
	v_mul_u32_u24_e32 v15, 24, v15
	s_wait_loadcnt_dscnt 0x400
	v_mul_f32_e32 v70, v32, v22
	v_fmac_f32_e32 v68, v1, v53
	v_fma_f32 v1, v1, v54, -v2
	v_or_b32_e32 v24, v15, v58
	ds_load_2addr_b64 v[13:16], v13 offset0:72 offset1:212
	v_add_nc_u32_e32 v23, 0x1000, v41
	v_add_nc_u32_e32 v63, 0x800, v41
	v_mul_f32_e32 v32, v32, v21
	v_mul_u32_u24_e32 v55, 56, v24
	s_wait_loadcnt 0x1
	v_dual_fmac_f32 v70, v31, v21 :: v_dual_mul_f32 v75, v20, v12
	s_delay_alu instid0(VALU_DEP_2) | instskip(SKIP_1) | instid1(VALU_DEP_2)
	v_add3_u32 v66, 0, v55, v40
	s_wait_dscnt 0x0
	v_dual_fmac_f32 v75, v19, v11 :: v_dual_mul_f32 v72, v8, v16
	ds_load_2addr_b64 v[23:26], v23 offset0:48 offset1:188
	v_add_nc_u32_e32 v27, 0x2a00, v41
	v_mul_f32_e32 v69, v4, v14
	v_mul_f32_e32 v4, v4, v13
	v_mul_f32_e32 v8, v8, v15
	v_fmac_f32_e32 v72, v7, v15
	s_delay_alu instid0(VALU_DEP_4) | instskip(NEXT) | instid1(VALU_DEP_4)
	v_fmac_f32_e32 v69, v3, v13
	v_fma_f32 v2, v3, v14, -v4
	v_fma_f32 v3, v31, v22, -v32
	s_delay_alu instid0(VALU_DEP_1)
	v_dual_sub_f32 v3, v1, v3 :: v_dual_add_nc_u32 v64, 0x2800, v41
	s_wait_dscnt 0x0
	v_mul_f32_e32 v71, v6, v24
	v_mul_f32_e32 v6, v6, v23
	ds_load_2addr_b64 v[27:30], v27 offset0:56 offset1:196
	ds_load_b64 v[55:56], v41
	ds_load_b64 v[57:58], v42
	;; [unrolled: 1-line block ×3, first 2 shown]
	global_wb scope:SCOPE_SE
	s_wait_loadcnt_dscnt 0x0
	v_fmac_f32_e32 v71, v5, v23
	v_fma_f32 v4, v5, v24, -v6
	v_fma_f32 v5, v7, v16, -v8
	s_barrier_signal -1
	s_barrier_wait -1
	global_inv scope:SCOPE_SE
	v_dual_mul_f32 v73, v28, v50 :: v_dual_mul_f32 v76, v30, v52
	v_dual_sub_f32 v13, v58, v5 :: v_dual_sub_f32 v14, v59, v75
	s_delay_alu instid0(VALU_DEP_2) | instskip(NEXT) | instid1(VALU_DEP_1)
	v_dual_fmac_f32 v73, v27, v49 :: v_dual_mul_f32 v74, v26, v10
	v_dual_mul_f32 v10, v25, v10 :: v_dual_sub_f32 v5, v71, v73
	s_delay_alu instid0(VALU_DEP_2) | instskip(NEXT) | instid1(VALU_DEP_2)
	v_fmac_f32_e32 v74, v25, v9
	v_fma_f32 v7, v26, v9, -v10
	v_sub_f32_e32 v10, v55, v69
	v_fma_f32 v25, v58, 2.0, -v13
	v_fma_f32 v26, v71, 2.0, -v5
	s_delay_alu instid0(VALU_DEP_3) | instskip(SKIP_1) | instid1(VALU_DEP_1)
	v_fma_f32 v16, v55, 2.0, -v10
	v_mul_f32_e32 v52, v29, v52
	v_fma_f32 v9, v30, v51, -v52
	s_delay_alu instid0(VALU_DEP_1) | instskip(NEXT) | instid1(VALU_DEP_1)
	v_sub_f32_e32 v9, v7, v9
	v_dual_mul_f32 v12, v19, v12 :: v_dual_add_f32 v21, v14, v9
	s_delay_alu instid0(VALU_DEP_1)
	v_fma_f32 v8, v20, v11, -v12
	v_mul_f32_e32 v50, v27, v50
	v_sub_f32_e32 v12, v57, v72
	v_fma_f32 v20, v1, 2.0, -v3
	v_add_f32_e32 v1, v10, v3
	v_sub_f32_e32 v15, v60, v8
	v_fma_f32 v6, v28, v49, -v50
	v_fma_f32 v24, v57, 2.0, -v12
	v_sub_f32_e32 v11, v56, v2
	v_fma_f32 v31, v7, 2.0, -v9
	v_fma_f32 v28, v59, 2.0, -v14
	v_sub_f32_e32 v6, v4, v6
	v_sub_f32_e32 v9, v24, v26
	;; [unrolled: 1-line block ×3, first 2 shown]
	v_fma_f32 v23, v56, 2.0, -v11
	v_fma_f32 v7, v10, 2.0, -v1
	v_dual_add_f32 v3, v12, v6 :: v_dual_fmac_f32 v76, v29, v51
	s_delay_alu instid0(VALU_DEP_4)
	v_fma_f32 v19, v68, 2.0, -v2
	v_fma_f32 v27, v4, 2.0, -v6
	;; [unrolled: 1-line block ×3, first 2 shown]
	v_sub_f32_e32 v2, v11, v2
	v_sub_f32_e32 v8, v74, v76
	v_dual_sub_f32 v4, v13, v5 :: v_dual_sub_f32 v5, v16, v19
	v_sub_f32_e32 v6, v23, v20
	v_sub_f32_e32 v10, v25, v27
	s_delay_alu instid0(VALU_DEP_4)
	v_fma_f32 v30, v74, 2.0, -v8
	v_sub_f32_e32 v22, v15, v8
	v_sub_f32_e32 v20, v29, v31
	v_fma_f32 v8, v11, 2.0, -v2
	v_fma_f32 v11, v12, 2.0, -v3
	v_sub_f32_e32 v19, v28, v30
	v_fma_f32 v12, v13, 2.0, -v4
	v_fma_f32 v13, v14, 2.0, -v21
	;; [unrolled: 1-line block ×9, first 2 shown]
	ds_store_2addr_b64 v65, v[5:6], v[1:2] offset0:84 offset1:126
	ds_store_2addr_b64 v65, v[15:16], v[7:8] offset1:42
	ds_store_2addr_b64 v66, v[23:24], v[11:12] offset1:42
	ds_store_2addr_b64 v66, v[9:10], v[3:4] offset0:84 offset1:126
	ds_store_2addr_b64 v67, v[25:26], v[13:14] offset1:42
	ds_store_2addr_b64 v67, v[19:20], v[21:22] offset0:84 offset1:126
	global_wb scope:SCOPE_SE
	s_wait_dscnt 0x0
	s_barrier_signal -1
	s_barrier_wait -1
	global_inv scope:SCOPE_SE
	ds_load_2addr_b64 v[13:16], v63 offset0:80 offset1:220
	ds_load_2addr_b64 v[9:12], v62 offset0:32 offset1:172
	;; [unrolled: 1-line block ×4, first 2 shown]
	ds_load_b64 v[31:32], v41
	ds_load_b64 v[29:30], v42
                                        ; kill: def $vgpr23 killed $sgpr0 killed $exec
                                        ; implicit-def: $vgpr28
                                        ; implicit-def: $vgpr26
                                        ; implicit-def: $vgpr24
	s_and_saveexec_b32 s15, vcc_lo
	s_cbranch_execz .LBB0_16
; %bb.15:
	ds_load_b64 v[19:20], v43
	ds_load_b64 v[21:22], v41 offset:4928
	ds_load_b64 v[23:24], v41 offset:7616
	;; [unrolled: 1-line block ×4, first 2 shown]
.LBB0_16:
	s_wait_alu 0xfffe
	s_or_b32 exec_lo, exec_lo, s15
	v_lshrrev_b16 v63, 10, v47
	v_lshrrev_b16 v64, 12, v48
	s_delay_alu instid0(VALU_DEP_2) | instskip(NEXT) | instid1(VALU_DEP_2)
	v_mul_lo_u16 v47, v63, 24
	v_mul_lo_u16 v48, v64, 24
	s_delay_alu instid0(VALU_DEP_2) | instskip(NEXT) | instid1(VALU_DEP_1)
	v_sub_nc_u16 v47, v39, v47
	v_and_b32_e32 v65, 0xff, v47
	s_delay_alu instid0(VALU_DEP_3) | instskip(NEXT) | instid1(VALU_DEP_2)
	v_sub_nc_u16 v47, v33, v48
	v_lshlrev_b32_e32 v51, 5, v65
	s_delay_alu instid0(VALU_DEP_2)
	v_and_b32_e32 v66, 0xff, v47
	global_load_b128 v[47:50], v51, s[10:11] offset:176
	s_wait_loadcnt_dscnt 0x5
	v_mul_f32_e32 v67, v48, v14
	v_lshlrev_b32_e32 v59, 5, v66
	s_wait_dscnt 0x4
	v_mul_f32_e32 v68, v50, v10
	v_mul_f32_e32 v50, v50, v9
	s_clause 0x2
	global_load_b128 v[51:54], v51, s[10:11] offset:192
	global_load_b128 v[55:58], v59, s[10:11] offset:176
	;; [unrolled: 1-line block ×3, first 2 shown]
	v_and_b32_e32 v63, 0xffff, v63
	v_and_b32_e32 v64, 0xffff, v64
	v_mul_f32_e32 v48, v48, v13
	global_wb scope:SCOPE_SE
	s_wait_loadcnt_dscnt 0x0
	s_barrier_signal -1
	s_barrier_wait -1
	global_inv scope:SCOPE_SE
	v_fmac_f32_e32 v67, v47, v13
	v_fma_f32 v13, v47, v14, -v48
	v_mul_f32_e32 v69, v52, v6
	v_mul_f32_e32 v52, v52, v5
	v_mad_u32_u24 v63, 0x78, v63, v65
	v_mad_u32_u24 v64, 0x78, v64, v66
	v_mul_f32_e32 v70, v54, v2
	v_dual_mul_f32 v54, v54, v1 :: v_dual_mul_f32 v71, v56, v16
	s_delay_alu instid0(VALU_DEP_4) | instskip(NEXT) | instid1(VALU_DEP_4)
	v_mul_u32_u24_e32 v63, 56, v63
	v_mul_u32_u24_e32 v64, 56, v64
	v_fma_f32 v6, v51, v6, -v52
	v_dual_mul_f32 v56, v56, v15 :: v_dual_fmac_f32 v69, v51, v5
	s_delay_alu instid0(VALU_DEP_4) | instskip(NEXT) | instid1(VALU_DEP_4)
	v_add3_u32 v63, 0, v63, v40
	v_add3_u32 v64, 0, v64, v40
	v_dual_mul_f32 v72, v58, v12 :: v_dual_fmac_f32 v71, v55, v15
	v_fma_f32 v14, v53, v2, -v54
	s_delay_alu instid0(VALU_DEP_4) | instskip(NEXT) | instid1(VALU_DEP_4)
	v_add_nc_u32_e32 v65, 0x800, v63
	v_add_nc_u32_e32 v66, 0x800, v64
	v_dual_mul_f32 v58, v58, v11 :: v_dual_mul_f32 v73, v60, v8
	s_delay_alu instid0(VALU_DEP_4)
	v_dual_mul_f32 v60, v60, v7 :: v_dual_sub_f32 v15, v13, v14
	v_mul_f32_e32 v74, v62, v4
	v_fmac_f32_e32 v68, v49, v9
	v_dual_fmac_f32 v70, v53, v1 :: v_dual_sub_f32 v53, v14, v6
	v_mul_f32_e32 v62, v62, v3
	v_fma_f32 v9, v49, v10, -v50
	v_fma_f32 v1, v55, v16, -v56
	v_fmac_f32_e32 v72, v57, v11
	v_fma_f32 v5, v57, v12, -v58
	v_fmac_f32_e32 v73, v59, v7
	v_fma_f32 v10, v59, v8, -v60
	v_dual_fmac_f32 v74, v61, v3 :: v_dual_sub_f32 v51, v68, v69
	v_add_f32_e32 v3, v68, v69
	v_fma_f32 v16, v61, v4, -v62
	v_dual_add_f32 v2, v31, v67 :: v_dual_sub_f32 v47, v9, v6
	v_dual_sub_f32 v4, v67, v68 :: v_dual_add_f32 v49, v9, v6
	v_sub_f32_e32 v11, v68, v67
	v_dual_sub_f32 v7, v70, v69 :: v_dual_add_f32 v8, v67, v70
	v_dual_sub_f32 v12, v69, v70 :: v_dual_add_f32 v57, v72, v73
	v_dual_add_f32 v48, v32, v13 :: v_dual_sub_f32 v55, v6, v14
	v_dual_add_f32 v54, v13, v14 :: v_dual_sub_f32 v83, v10, v16
	v_add_f32_e32 v56, v29, v71
	v_dual_sub_f32 v75, v73, v74 :: v_dual_add_f32 v76, v30, v1
	v_dual_add_f32 v77, v5, v10 :: v_dual_sub_f32 v78, v72, v73
	v_dual_sub_f32 v50, v67, v70 :: v_dual_sub_f32 v61, v74, v73
	v_dual_sub_f32 v52, v13, v9 :: v_dual_sub_f32 v67, v72, v71
	v_dual_add_f32 v62, v71, v74 :: v_dual_sub_f32 v79, v1, v5
	v_dual_sub_f32 v80, v16, v10 :: v_dual_add_f32 v81, v1, v16
	v_sub_f32_e32 v13, v9, v13
	v_sub_f32_e32 v58, v1, v16
	v_dual_sub_f32 v59, v5, v10 :: v_dual_sub_f32 v60, v71, v72
	v_dual_sub_f32 v82, v5, v1 :: v_dual_add_f32 v85, v11, v12
	v_add_f32_e32 v68, v2, v68
	v_fma_f32 v1, -0.5, v3, v31
	v_fma_f32 v31, -0.5, v8, v31
	v_add_f32_e32 v8, v48, v9
	v_fma_f32 v2, -0.5, v49, v32
	v_sub_f32_e32 v71, v71, v74
	v_dual_fmac_f32 v32, -0.5, v54 :: v_dual_add_f32 v9, v56, v72
	v_add_f32_e32 v84, v4, v7
	v_fma_f32 v3, -0.5, v57, v29
	v_add_f32_e32 v12, v76, v5
	v_fma_f32 v4, -0.5, v77, v30
	;; [unrolled: 2-line block ×3, first 2 shown]
	v_dual_add_f32 v53, v67, v75 :: v_dual_fmac_f32 v30, -0.5, v81
	v_dual_add_f32 v49, v13, v55 :: v_dual_add_f32 v52, v60, v61
	v_fmamk_f32 v7, v47, 0x3f737871, v31
	v_add_f32_e32 v55, v82, v83
	v_dual_fmamk_f32 v5, v15, 0xbf737871, v1 :: v_dual_add_f32 v56, v8, v6
	v_dual_add_f32 v57, v9, v73 :: v_dual_fmamk_f32 v6, v50, 0x3f737871, v2
	v_dual_add_f32 v54, v79, v80 :: v_dual_add_f32 v13, v68, v69
	v_fmac_f32_e32 v1, 0x3f737871, v15
	v_dual_fmac_f32 v31, 0xbf737871, v47 :: v_dual_fmamk_f32 v8, v51, 0xbf737871, v32
	v_dual_fmac_f32 v32, 0x3f737871, v51 :: v_dual_fmamk_f32 v11, v59, 0x3f737871, v29
	v_dual_fmac_f32 v2, 0xbf737871, v50 :: v_dual_fmac_f32 v29, 0xbf737871, v59
	v_fmamk_f32 v9, v58, 0xbf737871, v3
	v_fmac_f32_e32 v3, 0x3f737871, v58
	v_dual_add_f32 v60, v12, v10 :: v_dual_fmac_f32 v5, 0xbf167918, v47
	v_fmamk_f32 v10, v71, 0x3f737871, v4
	v_fmamk_f32 v12, v78, 0xbf737871, v30
	v_fmac_f32_e32 v30, 0x3f737871, v78
	v_fmac_f32_e32 v4, 0xbf737871, v71
	v_dual_fmac_f32 v7, 0xbf167918, v15 :: v_dual_fmac_f32 v32, 0xbf167918, v50
	v_dual_fmac_f32 v6, 0x3f167918, v51 :: v_dual_fmac_f32 v29, 0x3f167918, v58
	v_add_f32_e32 v13, v13, v70
	v_dual_fmac_f32 v1, 0x3f167918, v47 :: v_dual_add_f32 v14, v56, v14
	v_dual_fmac_f32 v31, 0x3f167918, v15 :: v_dual_fmac_f32 v8, 0x3f167918, v50
	v_dual_fmac_f32 v2, 0xbf167918, v51 :: v_dual_fmac_f32 v11, 0xbf167918, v58
	v_add_f32_e32 v15, v57, v74
	v_dual_fmac_f32 v9, 0xbf167918, v59 :: v_dual_add_f32 v16, v60, v16
	v_dual_fmac_f32 v3, 0x3f167918, v59 :: v_dual_fmac_f32 v10, 0x3f167918, v78
	v_fmac_f32_e32 v12, 0x3f167918, v71
	v_fmac_f32_e32 v30, 0xbf167918, v71
	;; [unrolled: 1-line block ×3, first 2 shown]
	v_dual_fmac_f32 v5, 0x3e9e377a, v84 :: v_dual_fmac_f32 v8, 0x3e9e377a, v49
	v_dual_fmac_f32 v7, 0x3e9e377a, v85 :: v_dual_fmac_f32 v6, 0x3e9e377a, v48
	;; [unrolled: 1-line block ×8, first 2 shown]
	ds_store_2addr_b64 v63, v[13:14], v[5:6] offset1:168
	ds_store_2addr_b64 v65, v[7:8], v[31:32] offset0:80 offset1:248
	ds_store_b64 v63, v[1:2] offset:5376
	ds_store_2addr_b64 v64, v[15:16], v[9:10] offset1:168
	ds_store_2addr_b64 v66, v[11:12], v[29:30] offset0:80 offset1:248
	ds_store_b64 v64, v[3:4] offset:5376
	s_and_saveexec_b32 s15, vcc_lo
	s_cbranch_execz .LBB0_18
; %bb.17:
	v_lshrrev_b16 v1, 12, v46
	s_delay_alu instid0(VALU_DEP_1) | instskip(NEXT) | instid1(VALU_DEP_1)
	v_mul_lo_u16 v1, v1, 24
	v_sub_nc_u16 v1, v35, v1
	s_delay_alu instid0(VALU_DEP_1) | instskip(NEXT) | instid1(VALU_DEP_1)
	v_and_b32_e32 v9, 0xff, v1
	v_lshlrev_b32_e32 v5, 5, v9
	s_clause 0x1
	global_load_b128 v[1:4], v5, s[10:11] offset:192
	global_load_b128 v[5:8], v5, s[10:11] offset:176
	s_wait_loadcnt 0x1
	v_mul_f32_e32 v12, v27, v4
	s_wait_loadcnt 0x0
	v_mul_f32_e32 v14, v23, v8
	v_mul_u32_u24_e32 v9, 56, v9
	v_dual_mul_f32 v15, v21, v6 :: v_dual_mul_f32 v8, v24, v8
	v_dual_mul_f32 v16, v26, v2 :: v_dual_mul_f32 v29, v28, v4
	s_delay_alu instid0(VALU_DEP_3)
	v_add3_u32 v9, 0, v9, v40
	v_fma_f32 v12, v28, v3, -v12
	v_mul_f32_e32 v13, v25, v2
	v_mul_f32_e32 v6, v22, v6
	v_fma_f32 v2, v24, v7, -v14
	v_add_nc_u32_e32 v10, 0x1800, v9
	v_add_nc_u32_e32 v11, 0x2400, v9
	v_fma_f32 v4, v26, v1, -v13
	v_fma_f32 v13, v22, v5, -v15
	v_dual_fmac_f32 v6, v21, v5 :: v_dual_fmac_f32 v29, v27, v3
	v_fmac_f32_e32 v8, v23, v7
	v_fmac_f32_e32 v16, v25, v1
	s_delay_alu instid0(VALU_DEP_4) | instskip(NEXT) | instid1(VALU_DEP_4)
	v_add_f32_e32 v1, v20, v13
	v_add_f32_e32 v3, v19, v6
	v_sub_f32_e32 v5, v2, v13
	v_dual_sub_f32 v7, v4, v12 :: v_dual_sub_f32 v22, v13, v2
	v_sub_f32_e32 v14, v8, v16
	v_dual_add_f32 v15, v13, v12 :: v_dual_sub_f32 v26, v16, v29
	v_dual_sub_f32 v23, v12, v4 :: v_dual_add_f32 v32, v1, v2
	v_dual_add_f32 v24, v2, v4 :: v_dual_sub_f32 v25, v8, v6
	v_dual_add_f32 v27, v6, v29 :: v_dual_add_f32 v46, v5, v7
	v_add_f32_e32 v31, v8, v16
	v_dual_sub_f32 v21, v6, v29 :: v_dual_sub_f32 v30, v29, v16
	v_sub_f32_e32 v28, v2, v4
	v_fma_f32 v2, -0.5, v15, v20
	v_sub_f32_e32 v13, v13, v12
	v_add_f32_e32 v3, v3, v8
	v_dual_add_f32 v15, v22, v23 :: v_dual_fmac_f32 v20, -0.5, v24
	v_add_f32_e32 v22, v25, v26
	v_fma_f32 v1, -0.5, v27, v19
	v_dual_fmac_f32 v19, -0.5, v31 :: v_dual_sub_f32 v6, v6, v8
	v_dual_add_f32 v7, v32, v4 :: v_dual_fmamk_f32 v4, v14, 0x3f737871, v2
	v_fmac_f32_e32 v2, 0xbf737871, v14
	s_delay_alu instid0(VALU_DEP_3)
	v_dual_add_f32 v16, v3, v16 :: v_dual_fmamk_f32 v5, v13, 0x3f737871, v19
	v_fmamk_f32 v3, v28, 0xbf737871, v1
	v_dual_add_f32 v23, v6, v30 :: v_dual_fmamk_f32 v6, v21, 0xbf737871, v20
	v_fmac_f32_e32 v20, 0x3f737871, v21
	v_dual_fmac_f32 v19, 0xbf737871, v13 :: v_dual_add_f32 v8, v7, v12
	v_fmac_f32_e32 v1, 0x3f737871, v28
	v_fmac_f32_e32 v4, 0xbf167918, v21
	s_delay_alu instid0(VALU_DEP_4) | instskip(NEXT) | instid1(VALU_DEP_4)
	v_dual_fmac_f32 v20, 0x3f167918, v14 :: v_dual_fmac_f32 v3, 0x3f167918, v13
	v_fmac_f32_e32 v19, 0xbf167918, v28
	v_dual_add_f32 v7, v16, v29 :: v_dual_fmac_f32 v6, 0xbf167918, v14
	v_dual_fmac_f32 v2, 0x3f167918, v21 :: v_dual_fmac_f32 v5, 0x3f167918, v28
	v_fmac_f32_e32 v1, 0xbf167918, v13
	s_delay_alu instid0(VALU_DEP_4) | instskip(SKIP_1) | instid1(VALU_DEP_4)
	v_dual_fmac_f32 v4, 0x3e9e377a, v46 :: v_dual_fmac_f32 v19, 0x3e9e377a, v23
	v_fmac_f32_e32 v20, 0x3e9e377a, v15
	v_dual_fmac_f32 v2, 0x3e9e377a, v46 :: v_dual_fmac_f32 v5, 0x3e9e377a, v23
	v_dual_fmac_f32 v6, 0x3e9e377a, v15 :: v_dual_fmac_f32 v3, 0x3e9e377a, v22
	v_fmac_f32_e32 v1, 0x3e9e377a, v22
	ds_store_2addr_b64 v10, v[7:8], v[19:20] offset0:72 offset1:240
	ds_store_2addr_b64 v11, v[1:2], v[3:4] offset0:24 offset1:192
	ds_store_b64 v9, v[5:6] offset:12096
.LBB0_18:
	s_wait_alu 0xfffe
	s_or_b32 exec_lo, exec_lo, s15
	v_cmp_gt_u64_e32 vcc_lo, s[12:13], v[17:18]
	global_wb scope:SCOPE_SE
	s_wait_dscnt 0x0
	s_barrier_signal -1
	s_barrier_wait -1
	global_inv scope:SCOPE_SE
	s_or_b32 s12, s14, vcc_lo
	s_wait_alu 0xfffe
	s_and_saveexec_b32 s13, s12
	s_cbranch_execz .LBB0_20
; %bb.19:
	v_subrev_nc_u32_e32 v1, 60, v39
	v_cmp_gt_u32_e32 vcc_lo, 0x1a4, v0
	v_dual_mov_b32 v2, 0 :: v_dual_add_nc_u32 v5, 0xffffffb0, v39
	s_load_b64 s[0:1], s[0:1], 0x8
	s_delay_alu instid0(VALU_DEP_1) | instskip(SKIP_3) | instid1(VALU_DEP_4)
	v_dual_cndmask_b32 v3, v1, v36 :: v_dual_mov_b32 v4, v2
	v_cmp_gt_u32_e32 vcc_lo, 0x230, v0
	v_dual_mov_b32 v6, v2 :: v_dual_mov_b32 v15, v2
	v_mov_b32_e32 v19, v2
	v_lshlrev_b64_e32 v[7:8], 3, v[3:4]
	s_wait_alu 0xfffd
	v_cndmask_b32_e32 v5, v5, v35, vcc_lo
	v_add_nc_u32_e32 v4, 0xffffff88, v39
	s_delay_alu instid0(VALU_DEP_2) | instskip(NEXT) | instid1(VALU_DEP_4)
	v_lshlrev_b64_e32 v[9:10], 3, v[5:6]
	v_add_co_u32 v6, vcc_lo, s10, v7
	s_wait_alu 0xfffd
	v_add_co_ci_u32_e32 v7, vcc_lo, s11, v8, vcc_lo
	v_mul_lo_u32 v74, v17, v5
	s_delay_alu instid0(VALU_DEP_4)
	v_add_co_u32 v8, vcc_lo, s10, v9
	s_wait_alu 0xfffd
	v_add_co_ci_u32_e32 v9, vcc_lo, s11, v10, vcc_lo
	s_clause 0x1
	global_load_b64 v[10:11], v[6:7], off offset:944
	global_load_b64 v[12:13], v[8:9], off offset:944
	v_add_nc_u32_e32 v1, 0xffffff9c, v39
	v_cmp_gt_u32_e32 vcc_lo, 0x2bc, v0
	s_wait_alu 0xfffd
	s_delay_alu instid0(VALU_DEP_2) | instskip(SKIP_2) | instid1(VALU_DEP_3)
	v_cndmask_b32_e32 v14, v1, v33, vcc_lo
	v_cmp_gt_u32_e32 vcc_lo, 0x348, v0
	v_and_b32_e32 v1, 0xff, v38
	v_lshlrev_b64_e32 v[6:7], 3, v[14:15]
	s_wait_alu 0xfffd
	v_cndmask_b32_e32 v18, v4, v39, vcc_lo
	s_delay_alu instid0(VALU_DEP_3) | instskip(SKIP_2) | instid1(VALU_DEP_4)
	v_mul_lo_u16 v1, 0x89, v1
	v_subrev_nc_u32_e32 v4, 40, v39
	v_mul_lo_u32 v75, v17, v14
	v_lshlrev_b64_e32 v[8:9], 3, v[18:19]
	v_add_co_u32 v6, vcc_lo, s10, v6
	s_wait_alu 0xfffd
	v_add_co_ci_u32_e32 v7, vcc_lo, s11, v7, vcc_lo
	v_mul_lo_u32 v76, v17, v18
	s_delay_alu instid0(VALU_DEP_4)
	v_add_co_u32 v8, vcc_lo, s10, v8
	s_wait_alu 0xfffd
	v_add_co_ci_u32_e32 v9, vcc_lo, s11, v9, vcc_lo
	s_clause 0x1
	global_load_b64 v[15:16], v[6:7], off offset:944
	global_load_b64 v[19:20], v[8:9], off offset:944
	v_lshrrev_b16 v6, 14, v1
	v_cmp_gt_u32_e32 vcc_lo, 0x118, v0
	v_lshrrev_b32_e32 v9, 5, v74
	v_lshrrev_b32_e32 v55, 5, v76
	s_wait_alu 0xfffd
	v_cndmask_b32_e32 v1, v4, v37, vcc_lo
	v_mul_lo_u16 v4, 0x78, v6
	s_delay_alu instid0(VALU_DEP_2) | instskip(NEXT) | instid1(VALU_DEP_2)
	v_lshlrev_b64_e32 v[6:7], 3, v[1:2]
	v_sub_nc_u16 v2, v38, v4
	s_delay_alu instid0(VALU_DEP_1) | instskip(SKIP_1) | instid1(VALU_DEP_4)
	v_and_b32_e32 v2, 0xff, v2
	v_mul_lo_u32 v39, v17, v1
	v_add_co_u32 v6, vcc_lo, s10, v6
	s_wait_alu 0xfffd
	v_add_co_ci_u32_e32 v7, vcc_lo, s11, v7, vcc_lo
	v_lshlrev_b32_e32 v4, 3, v2
	v_cmp_lt_u32_e32 vcc_lo, 0x347, v0
	global_load_b64 v[21:22], v[6:7], off offset:944
	v_lshrrev_b32_e32 v6, 5, v39
	global_load_b64 v[23:24], v4, s[10:11] offset:944
	v_and_b32_e32 v4, 0xff, v39
	v_and_b32_e32 v8, 0xff, v74
	s_wait_alu 0xfffd
	v_cndmask_b32_e64 v0, 0, 0xf0, vcc_lo
	v_and_b32_e32 v6, 0x7f8, v6
	v_lshlrev_b32_e32 v4, 3, v4
	s_wait_kmcnt 0x0
	s_clause 0x1
	global_load_b64 v[25:26], v4, s[0:1]
	global_load_b64 v[27:28], v6, s[0:1] offset:2048
	v_mul_lo_u32 v4, v17, v3
	s_delay_alu instid0(VALU_DEP_1) | instskip(SKIP_2) | instid1(VALU_DEP_3)
	v_and_b32_e32 v6, 0xff, v4
	v_lshrrev_b32_e32 v7, 5, v4
	v_lshrrev_b32_e32 v4, 13, v4
	v_lshlrev_b32_e32 v6, 3, v6
	s_delay_alu instid0(VALU_DEP_3)
	v_and_b32_e32 v7, 0x7f8, v7
	s_clause 0x1
	global_load_b64 v[29:30], v6, s[0:1]
	global_load_b64 v[31:32], v7, s[0:1] offset:2048
	v_lshlrev_b32_e32 v6, 3, v8
	v_and_b32_e32 v8, 0xff, v75
	v_and_b32_e32 v7, 0x7f8, v9
	v_lshrrev_b32_e32 v9, 5, v75
	s_clause 0x1
	global_load_b64 v[46:47], v6, s[0:1]
	global_load_b64 v[48:49], v7, s[0:1] offset:2048
	v_lshlrev_b32_e32 v8, 3, v8
	v_and_b32_e32 v9, 0x7f8, v9
	v_add_nc_u32_e32 v6, 0x78, v1
	s_clause 0x1
	global_load_b64 v[50:51], v8, s[0:1]
	global_load_b64 v[52:53], v9, s[0:1] offset:2048
	v_and_b32_e32 v54, 0xff, v76
	v_mul_lo_u32 v77, v17, v6
	v_and_b32_e32 v8, 0x7f8, v55
	v_add_nc_u32_e32 v7, 0x78, v3
	s_delay_alu instid0(VALU_DEP_4)
	v_lshlrev_b32_e32 v6, 3, v54
	s_clause 0x1
	global_load_b64 v[54:55], v6, s[0:1]
	global_load_b64 v[56:57], v8, s[0:1] offset:2048
	v_and_b32_e32 v4, 0x7f8, v4
	v_mul_lo_u32 v78, v17, v7
	v_lshrrev_b32_e32 v7, 5, v77
	s_delay_alu instid0(VALU_DEP_1) | instskip(NEXT) | instid1(VALU_DEP_3)
	v_and_b32_e32 v7, 0x7f8, v7
	v_lshrrev_b32_e32 v9, 5, v78
	s_wait_loadcnt 0x0
	v_mul_f32_e32 v93, v54, v57
	s_delay_alu instid0(VALU_DEP_1) | instskip(NEXT) | instid1(VALU_DEP_1)
	v_dual_fmac_f32 v93, v55, v56 :: v_dual_and_b32 v6, 0xff, v77
	v_lshlrev_b32_e32 v6, 3, v6
	s_clause 0x1
	global_load_b64 v[58:59], v6, s[0:1]
	global_load_b64 v[60:61], v7, s[0:1] offset:2048
	v_add_nc_u32_e32 v8, 0x78, v5
	v_and_b32_e32 v7, 0x7f8, v9
	s_delay_alu instid0(VALU_DEP_2) | instskip(SKIP_1) | instid1(VALU_DEP_1)
	v_mul_lo_u32 v79, v17, v8
	v_and_b32_e32 v8, 0xff, v78
	v_lshlrev_b32_e32 v6, 3, v8
	s_clause 0x1
	global_load_b64 v[62:63], v6, s[0:1]
	global_load_b64 v[64:65], v7, s[0:1] offset:2048
	v_and_b32_e32 v8, 0xff, v79
	v_lshrrev_b32_e32 v9, 5, v79
	s_delay_alu instid0(VALU_DEP_2) | instskip(SKIP_1) | instid1(VALU_DEP_3)
	v_lshlrev_b32_e32 v6, 3, v8
	v_add_nc_u32_e32 v8, 0x78, v14
	v_and_b32_e32 v7, 0x7f8, v9
	s_clause 0x1
	global_load_b64 v[66:67], v6, s[0:1]
	global_load_b64 v[68:69], v7, s[0:1] offset:2048
	v_mul_lo_u32 v80, v17, v8
	s_delay_alu instid0(VALU_DEP_1) | instskip(SKIP_1) | instid1(VALU_DEP_2)
	v_and_b32_e32 v6, 0xff, v80
	v_lshrrev_b32_e32 v7, 5, v80
	v_lshlrev_b32_e32 v6, 3, v6
	s_delay_alu instid0(VALU_DEP_2)
	v_and_b32_e32 v7, 0x7f8, v7
	s_clause 0x1
	global_load_b64 v[70:71], v6, s[0:1]
	global_load_b64 v[72:73], v7, s[0:1] offset:2048
	v_add_nc_u32_e32 v6, 0x2000, v41
	ds_load_2addr_b64 v[6:9], v6 offset0:96 offset1:236
	s_wait_dscnt 0x0
	v_mul_f32_e32 v81, v11, v8
	v_dual_mul_f32 v82, v11, v9 :: v_dual_mul_f32 v11, v13, v6
	v_mul_f32_e32 v83, v13, v7
	v_add_nc_u32_e32 v13, 0x1800, v41
	s_delay_alu instid0(VALU_DEP_4) | instskip(NEXT) | instid1(VALU_DEP_4)
	v_fma_f32 v81, v10, v9, -v81
	v_fmac_f32_e32 v82, v10, v8
	v_fma_f32 v84, v12, v7, -v11
	v_fmac_f32_e32 v83, v12, v6
	ds_load_2addr_b64 v[6:9], v13 offset0:72 offset1:212
	v_add_nc_u32_e32 v12, 0x2a00, v41
	s_wait_dscnt 0x0
	v_mul_f32_e32 v10, v16, v8
	v_mul_f32_e32 v85, v16, v9
	;; [unrolled: 1-line block ×4, first 2 shown]
	s_delay_alu instid0(VALU_DEP_4) | instskip(NEXT) | instid1(VALU_DEP_4)
	v_fma_f32 v87, v15, v9, -v10
	v_fmac_f32_e32 v85, v15, v8
	s_delay_alu instid0(VALU_DEP_4) | instskip(NEXT) | instid1(VALU_DEP_4)
	v_fma_f32 v88, v19, v7, -v11
	v_fmac_f32_e32 v86, v19, v6
	ds_load_2addr_b64 v[6:9], v12 offset0:56 offset1:196
	v_add_nc_u32_e32 v10, 0x78, v18
	v_lshrrev_b32_e32 v15, 13, v74
	v_lshrrev_b32_e32 v11, 13, v39
	v_mul_f32_e32 v74, v25, v28
	v_lshrrev_b32_e32 v19, 13, v75
	v_mul_lo_u32 v89, v17, v10
	v_and_b32_e32 v15, 0x7f8, v15
	s_delay_alu instid0(VALU_DEP_4) | instskip(NEXT) | instid1(VALU_DEP_4)
	v_dual_mul_f32 v75, v29, v32 :: v_dual_fmac_f32 v74, v26, v27
	v_and_b32_e32 v19, 0x7f8, v19
	s_delay_alu instid0(VALU_DEP_2)
	v_fmac_f32_e32 v75, v30, v31
	v_lshrrev_b32_e32 v13, 5, v89
	s_wait_dscnt 0x0
	v_mul_f32_e32 v90, v22, v7
	v_dual_mul_f32 v10, v22, v6 :: v_dual_mul_f32 v91, v9, v24
	v_lshrrev_b32_e32 v22, 13, v78
	v_mul_f32_e32 v78, v46, v49
	s_delay_alu instid0(VALU_DEP_4) | instskip(SKIP_4) | instid1(VALU_DEP_4)
	v_fmac_f32_e32 v90, v21, v6
	v_and_b32_e32 v12, 0xff, v89
	v_fma_f32 v39, v21, v7, -v10
	v_mul_f32_e32 v6, v8, v24
	v_dual_fmac_f32 v91, v8, v23 :: v_dual_and_b32 v10, 0x7f8, v13
	v_lshlrev_b32_e32 v7, 3, v12
	v_lshrrev_b32_e32 v21, 13, v77
	s_delay_alu instid0(VALU_DEP_4)
	v_fma_f32 v92, v9, v23, -v6
	s_clause 0x1
	global_load_b64 v[6:7], v7, s[0:1]
	global_load_b64 v[8:9], v10, s[0:1] offset:2048
	v_and_b32_e32 v10, 0x7f8, v11
	s_clause 0x2
	global_load_b64 v[10:11], v10, s[0:1] offset:4096
	global_load_b64 v[12:13], v4, s[0:1] offset:4096
	;; [unrolled: 1-line block ×3, first 2 shown]
	v_mul_f32_e32 v4, v26, v28
	v_mul_f32_e32 v26, v47, v49
	global_load_b64 v[19:20], v19, s[0:1] offset:4096
	v_mul_f32_e32 v23, v30, v32
	v_lshrrev_b32_e32 v28, 13, v80
	v_mul_lo_u32 v80, v17, v2
	v_fma_f32 v4, v25, v27, -v4
	v_lshrrev_b32_e32 v24, 13, v79
	v_and_b32_e32 v25, 0x7f8, v22
	v_fma_f32 v77, v29, v31, -v23
	v_mul_f32_e32 v29, v51, v53
	v_lshrrev_b32_e32 v31, 13, v89
	v_dual_fmac_f32 v78, v47, v48 :: v_dual_and_b32 v21, 0x7f8, v21
	v_and_b32_e32 v27, 0x7f8, v24
	v_fma_f32 v79, v46, v48, -v26
	v_fma_f32 v89, v50, v52, -v29
	v_dual_mul_f32 v29, v55, v57 :: v_dual_and_b32 v30, 0x7f8, v28
	v_and_b32_e32 v31, 0x7f8, v31
	v_lshrrev_b32_e32 v47, 5, v80
	s_clause 0x2
	global_load_b64 v[21:22], v21, s[0:1] offset:4096
	global_load_b64 v[23:24], v25, s[0:1] offset:4096
	;; [unrolled: 1-line block ×3, first 2 shown]
	v_fma_f32 v94, v54, v56, -v29
	global_load_b64 v[29:30], v30, s[0:1] offset:4096
	v_lshrrev_b32_e32 v27, 13, v76
	v_dual_mul_f32 v76, v50, v53 :: v_dual_and_b32 v49, 0x7f8, v47
	v_lshrrev_b32_e32 v54, 13, v80
	s_delay_alu instid0(VALU_DEP_2) | instskip(SKIP_4) | instid1(VALU_DEP_2)
	v_dual_fmac_f32 v76, v51, v52 :: v_dual_and_b32 v27, 0x7f8, v27
	global_load_b64 v[27:28], v27, s[0:1] offset:4096
	s_wait_loadcnt 0x11
	v_mul_f32_e32 v48, v59, v61
	v_mul_f32_e32 v61, v58, v61
	v_fma_f32 v58, v58, v60, -v48
	v_and_b32_e32 v46, 0xff, v80
	s_delay_alu instid0(VALU_DEP_3) | instskip(SKIP_1) | instid1(VALU_DEP_2)
	v_dual_fmac_f32 v61, v59, v60 :: v_dual_add_nc_u32 v32, 0x78, v2
	v_sub_nc_u32_e32 v2, v38, v2
	v_mul_lo_u32 v17, v17, v32
	global_load_b64 v[31:32], v31, s[0:1] offset:4096
	s_wait_loadcnt 0x10
	v_mul_f32_e32 v50, v63, v65
	v_mul_f32_e32 v59, v62, v65
	v_lshrrev_b32_e32 v51, 5, v17
	s_delay_alu instid0(VALU_DEP_3)
	v_fma_f32 v60, v62, v64, -v50
	v_lshlrev_b32_e32 v46, 3, v46
	s_clause 0x1
	global_load_b64 v[46:47], v46, s[0:1]
	global_load_b64 v[48:49], v49, s[0:1] offset:2048
	v_dual_fmac_f32 v59, v63, v64 :: v_dual_and_b32 v50, 0xff, v17
	s_wait_loadcnt 0x10
	v_dual_mul_f32 v52, v67, v69 :: v_dual_and_b32 v53, 0x7f8, v51
	v_lshrrev_b32_e32 v17, 13, v17
	v_and_b32_e32 v54, 0x7f8, v54
	v_lshlrev_b32_e32 v50, 3, v50
	s_delay_alu instid0(VALU_DEP_4)
	v_fma_f32 v63, v66, v68, -v52
	s_clause 0x1
	global_load_b64 v[50:51], v50, s[0:1]
	global_load_b64 v[52:53], v53, s[0:1] offset:2048
	v_and_b32_e32 v17, 0x7f8, v17
	global_load_b64 v[56:57], v17, s[0:1] offset:4096
	s_wait_loadcnt 0x11
	v_mul_f32_e32 v55, v71, v73
	s_delay_alu instid0(VALU_DEP_1) | instskip(SKIP_3) | instid1(SALU_CYCLE_1)
	v_fma_f32 v65, v70, v72, -v55
	v_mul_f32_e32 v64, v70, v73
	global_load_b64 v[54:55], v54, s[0:1] offset:4096
	s_lshl_b64 s[0:1], s[8:9], 3
	s_add_nc_u64 s[0:1], s[2:3], s[0:1]
	v_fmac_f32_e32 v64, v71, v72
	v_mul_f32_e32 v62, v66, v69
	s_delay_alu instid0(VALU_DEP_1) | instskip(SKIP_3) | instid1(VALU_DEP_2)
	v_fmac_f32_e32 v62, v67, v68
	s_wait_loadcnt 0x10
	v_mul_f32_e32 v17, v7, v9
	v_mul_f32_e32 v66, v6, v9
	v_fma_f32 v67, v6, v8, -v17
	s_wait_loadcnt 0xd
	v_dual_mul_f32 v6, v74, v11 :: v_dual_mul_f32 v71, v79, v16
	v_dual_mul_f32 v68, v4, v11 :: v_dual_mul_f32 v69, v77, v13
	s_wait_loadcnt 0xc
	v_mul_f32_e32 v73, v89, v20
	s_delay_alu instid0(VALU_DEP_3)
	v_fma_f32 v4, v10, v4, -v6
	v_fmac_f32_e32 v71, v15, v78
	v_fmac_f32_e32 v66, v7, v8
	v_dual_mul_f32 v8, v75, v13 :: v_dual_fmac_f32 v69, v12, v75
	v_fmac_f32_e32 v73, v19, v76
	v_add_nc_u32_e32 v75, v18, v0
	v_fmac_f32_e32 v68, v10, v74
	v_mul_f32_e32 v10, v78, v16
	v_fma_f32 v70, v12, v77, -v8
	v_mul_f32_e32 v12, v76, v20
	ds_load_b64 v[6:7], v45
	ds_load_b32 v45, v45
	ds_load_b64 v[8:9], v44
	ds_load_b32 v44, v44
	v_fma_f32 v72, v15, v79, -v10
	v_mad_co_u64_u32 v[10:11], null, s6, v34, 0
	v_fma_f32 v74, v19, v89, -v12
	ds_load_b64 v[12:13], v43
	ds_load_b64 v[15:16], v42
	;; [unrolled: 1-line block ×3, first 2 shown]
	v_mul_i32_i24_e32 v17, 56, v38
	v_mov_b32_e32 v0, v11
	ds_load_b32 v11, v43
	ds_load_b32 v42, v42
	;; [unrolled: 1-line block ×3, first 2 shown]
	v_add3_u32 v40, 0, v17, v40
	v_mad_co_u64_u32 v[17:18], null, s7, v34, v[0:1]
	s_wait_dscnt 0x5
	v_dual_sub_f32 v43, v6, v90 :: v_dual_sub_f32 v80, v12, v83
	v_sub_f32_e32 v79, v13, v84
	s_wait_dscnt 0x3
	v_dual_sub_f32 v83, v20, v88 :: v_dual_sub_f32 v84, v19, v86
	s_delay_alu instid0(VALU_DEP_3)
	v_fma_f32 v19, v45, 2.0, -v43
	s_wait_dscnt 0x2
	v_fma_f32 v11, v11, 2.0, -v80
	v_sub_f32_e32 v76, v8, v82
	v_fma_f32 v86, v20, 2.0, -v83
	s_wait_loadcnt 0xb
	v_mul_f32_e32 v8, v61, v22
	v_fma_f32 v45, v13, 2.0, -v79
	s_wait_loadcnt 0xa
	v_mul_f32_e32 v13, v60, v24
	v_fma_f32 v44, v44, 2.0, -v76
	v_sub_f32_e32 v82, v15, v85
	s_delay_alu instid0(VALU_DEP_3)
	v_fmac_f32_e32 v13, v23, v59
	s_wait_loadcnt 0x4
	v_mul_f32_e32 v20, v47, v49
	v_mul_f32_e32 v49, v46, v49
	v_dual_sub_f32 v34, v9, v81 :: v_dual_sub_f32 v81, v16, v87
	s_wait_dscnt 0x0
	v_fma_f32 v87, v41, 2.0, -v84
	v_fma_f32 v41, v21, v58, -v8
	v_fmac_f32_e32 v49, v47, v48
	v_fma_f32 v78, v9, 2.0, -v34
	v_dual_mul_f32 v9, v58, v22 :: v_dual_mul_f32 v8, v59, v24
	v_fma_f32 v85, v16, 2.0, -v81
	v_mul_f32_e32 v16, v63, v26
	s_delay_alu instid0(VALU_DEP_3)
	v_dual_mul_f32 v58, v94, v28 :: v_dual_fmac_f32 v9, v21, v61
	v_mul_f32_e32 v21, v65, v30
	v_fma_f32 v60, v23, v60, -v8
	v_mul_f32_e32 v23, v44, v69
	v_mul_f32_e32 v15, v64, v30
	v_fmac_f32_e32 v16, v25, v62
	v_dual_fmac_f32 v21, v29, v64 :: v_dual_sub_f32 v0, v7, v39
	ds_load_b64 v[39:40], v40
	v_fma_f32 v61, v29, v65, -v15
	v_dual_mul_f32 v15, v45, v71 :: v_dual_mul_f32 v18, v66, v32
	v_mul_f32_e32 v47, v43, v9
	v_fma_f32 v46, v46, v48, -v20
	v_mul_f32_e32 v24, v79, v16
	s_wait_loadcnt 0x0
	s_delay_alu instid0(VALU_DEP_2) | instskip(SKIP_1) | instid1(VALU_DEP_1)
	v_dual_fmac_f32 v15, v11, v72 :: v_dual_mul_f32 v48, v46, v55
	s_wait_dscnt 0x0
	v_dual_fmac_f32 v48, v54, v49 :: v_dual_sub_f32 v59, v39, v91
	v_mul_f32_e32 v12, v62, v26
	v_mul_f32_e32 v26, v67, v32
	v_sub_f32_e32 v32, v40, v92
	v_fma_f32 v62, v31, v67, -v18
	v_mul_f32_e32 v18, v85, v73
	v_fma_f32 v30, v25, v63, -v12
	v_mul_f32_e32 v25, v11, v71
	v_fmac_f32_e32 v26, v31, v66
	v_fma_f32 v31, v40, 2.0, -v32
	v_fma_f32 v40, v39, 2.0, -v59
	v_mul_f32_e32 v39, v51, v53
	v_mul_f32_e32 v11, v82, v21
	v_fma_f32 v77, v7, 2.0, -v0
	v_dual_mul_f32 v22, v19, v68 :: v_dual_mul_f32 v53, v50, v53
	s_delay_alu instid0(VALU_DEP_4) | instskip(SKIP_1) | instid1(VALU_DEP_4)
	v_fma_f32 v39, v50, v52, -v39
	v_mul_f32_e32 v88, v93, v28
	v_mul_f32_e32 v8, v77, v68
	;; [unrolled: 1-line block ×3, first 2 shown]
	v_fma_f32 v9, v77, v4, -v22
	v_dual_mul_f32 v28, v81, v21 :: v_dual_fmac_f32 v53, v51, v52
	s_delay_alu instid0(VALU_DEP_4)
	v_fmac_f32_e32 v8, v19, v4
	v_mul_f32_e32 v4, v76, v13
	v_fma_f32 v21, v0, v41, -v47
	v_mul_f32_e32 v0, v39, v57
	v_mad_co_u64_u32 v[6:7], null, s4, v75, 0
	v_mul_f32_e32 v22, v34, v13
	v_fma_f32 v13, v78, v70, -v23
	v_fma_f32 v23, v34, v60, -v4
	v_mul_f32_e32 v4, v53, v57
	v_fmac_f32_e32 v0, v56, v53
	v_mul_f32_e32 v12, v78, v69
	v_fmac_f32_e32 v20, v43, v41
	v_fmac_f32_e32 v24, v80, v30
	v_fma_f32 v4, v56, v39, -v4
	v_mul_f32_e32 v39, v32, v0
	v_fma_f32 v42, v42, 2.0, -v82
	v_fmac_f32_e32 v12, v44, v70
	v_mul_f32_e32 v44, v80, v16
	v_mul_f32_e32 v41, v59, v0
	s_delay_alu instid0(VALU_DEP_4) | instskip(SKIP_3) | instid1(VALU_DEP_4)
	v_dual_mov_b32 v0, v7 :: v_dual_mul_f32 v29, v42, v73
	v_fma_f32 v16, v45, v72, -v25
	v_mul_f32_e32 v45, v49, v55
	v_fma_f32 v25, v79, v30, -v44
	v_mad_co_u64_u32 v[43:44], null, s5, v75, v[0:1]
	v_fma_f32 v19, v85, v74, -v29
	v_fma_f32 v29, v81, v61, -v11
	v_fma_f32 v11, v54, v46, -v45
	v_mul_f32_e32 v30, v31, v48
	v_mul_f32_e32 v34, v40, v48
	v_dual_fmac_f32 v18, v42, v74 :: v_dual_mov_b32 v7, v43
	v_fmac_f32_e32 v58, v27, v93
	s_delay_alu instid0(VALU_DEP_4)
	v_fmac_f32_e32 v30, v40, v11
	v_fma_f32 v40, v32, v4, -v41
	v_add_nc_u32_e32 v32, 0x78, v75
	v_fma_f32 v31, v31, v11, -v34
	v_dual_mov_b32 v11, v17 :: v_dual_mul_f32 v42, v84, v26
	v_fmac_f32_e32 v39, v59, v4
	s_delay_alu instid0(VALU_DEP_4)
	v_mad_co_u64_u32 v[44:45], null, s4, v32, 0
	v_mul_f32_e32 v41, v83, v26
	v_fma_f32 v4, v27, v94, -v88
	v_mul_f32_e32 v27, v87, v58
	v_mul_f32_e32 v26, v86, v58
	v_lshlrev_b64_e32 v[10:11], 3, v[10:11]
	v_lshlrev_b64_e32 v[6:7], 3, v[6:7]
	v_mov_b32_e32 v0, v45
	v_fma_f32 v27, v86, v4, -v27
	v_fmac_f32_e32 v26, v87, v4
	v_sub_nc_u32_e32 v4, v33, v14
	v_add_co_u32 v17, vcc_lo, s0, v10
	s_wait_alu 0xfffd
	v_add_co_ci_u32_e32 v43, vcc_lo, s1, v11, vcc_lo
	s_delay_alu instid0(VALU_DEP_3) | instskip(SKIP_2) | instid1(VALU_DEP_3)
	v_add_nc_u32_e32 v4, v4, v33
	v_mad_co_u64_u32 v[10:11], null, s5, v32, v[0:1]
	v_add_co_u32 v6, vcc_lo, v17, v6
	v_mad_co_u64_u32 v[32:33], null, s4, v4, 0
	v_add_nc_u32_e32 v14, 0x78, v4
	s_wait_alu 0xfffd
	v_add_co_ci_u32_e32 v7, vcc_lo, v43, v7, vcc_lo
	v_mov_b32_e32 v45, v10
	v_fma_f32 v42, v83, v62, -v42
	v_mad_co_u64_u32 v[10:11], null, s4, v14, 0
	v_mov_b32_e32 v0, v33
	global_store_b64 v[6:7], v[26:27], off
	v_lshlrev_b64_e32 v[6:7], 3, v[44:45]
	v_dual_fmac_f32 v41, v84, v62 :: v_dual_fmac_f32 v28, v82, v61
	v_mad_co_u64_u32 v[26:27], null, s5, v4, v[0:1]
	v_mov_b32_e32 v0, v11
	v_sub_nc_u32_e32 v11, v35, v5
	v_add_co_u32 v4, vcc_lo, v17, v6
	s_wait_alu 0xfffd
	v_add_co_ci_u32_e32 v5, vcc_lo, v43, v7, vcc_lo
	v_mov_b32_e32 v33, v26
	v_mad_co_u64_u32 v[6:7], null, s5, v14, v[0:1]
	v_add_nc_u32_e32 v14, v11, v35
	global_store_b64 v[4:5], v[41:42], off
	v_lshlrev_b64_e32 v[4:5], 3, v[32:33]
	v_sub_nc_u32_e32 v32, v36, v3
	v_dual_mov_b32 v11, v6 :: v_dual_add_nc_u32 v34, 0x78, v14
	v_mad_co_u64_u32 v[6:7], null, s4, v14, 0
	s_delay_alu instid0(VALU_DEP_4) | instskip(NEXT) | instid1(VALU_DEP_3)
	v_add_co_u32 v3, vcc_lo, v17, v4
	v_mad_co_u64_u32 v[26:27], null, s4, v34, 0
	v_add_nc_u32_e32 v36, v32, v36
	s_wait_alu 0xfffd
	v_add_co_ci_u32_e32 v4, vcc_lo, v43, v5, vcc_lo
	v_mov_b32_e32 v0, v7
	v_lshlrev_b64_e32 v[10:11], 3, v[10:11]
	v_mov_b32_e32 v5, v27
	global_store_b64 v[3:4], v[18:19], off
	v_mad_co_u64_u32 v[32:33], null, s5, v14, v[0:1]
	v_add_co_u32 v10, vcc_lo, v17, v10
	v_mad_co_u64_u32 v[33:34], null, s5, v34, v[5:6]
	v_mad_co_u64_u32 v[34:35], null, s4, v36, 0
	s_delay_alu instid0(VALU_DEP_4) | instskip(SKIP_2) | instid1(VALU_DEP_4)
	v_mov_b32_e32 v7, v32
	s_wait_alu 0xfffd
	v_add_co_ci_u32_e32 v11, vcc_lo, v43, v11, vcc_lo
	v_dual_mov_b32 v27, v33 :: v_dual_add_nc_u32 v14, 0x78, v36
	s_delay_alu instid0(VALU_DEP_3)
	v_lshlrev_b64_e32 v[3:4], 3, v[6:7]
	v_mov_b32_e32 v0, v35
	global_store_b64 v[10:11], v[28:29], off
	v_mad_co_u64_u32 v[10:11], null, s4, v14, 0
	v_add_co_u32 v3, vcc_lo, v17, v3
	v_mad_co_u64_u32 v[5:6], null, s5, v36, v[0:1]
	s_wait_alu 0xfffd
	v_add_co_ci_u32_e32 v4, vcc_lo, v43, v4, vcc_lo
	v_lshlrev_b64_e32 v[6:7], 3, v[26:27]
	global_store_b64 v[3:4], v[15:16], off
	v_sub_nc_u32_e32 v4, v37, v1
	v_mov_b32_e32 v35, v5
	v_add_co_u32 v5, vcc_lo, v17, v6
	v_mov_b32_e32 v3, v11
	s_wait_alu 0xfffd
	v_add_co_ci_u32_e32 v6, vcc_lo, v43, v7, vcc_lo
	v_add_nc_u32_e32 v15, v4, v37
	v_lshlrev_b64_e32 v[0:1], 3, v[34:35]
	v_mad_co_u64_u32 v[3:4], null, s5, v14, v[3:4]
	global_store_b64 v[5:6], v[24:25], off
	v_mad_co_u64_u32 v[4:5], null, s4, v15, 0
	v_add_co_u32 v0, vcc_lo, v17, v0
	s_wait_alu 0xfffd
	v_add_co_ci_u32_e32 v1, vcc_lo, v43, v1, vcc_lo
	v_add_nc_u32_e32 v14, 0x78, v15
	v_add_nc_u32_e32 v16, v2, v38
	v_mov_b32_e32 v2, v5
	global_store_b64 v[0:1], v[12:13], off
	v_mov_b32_e32 v11, v3
	v_mad_co_u64_u32 v[0:1], null, s4, v14, 0
	v_mad_co_u64_u32 v[2:3], null, s5, v15, v[2:3]
	;; [unrolled: 1-line block ×3, first 2 shown]
	v_add_nc_u32_e32 v15, 0x78, v16
	v_lshlrev_b64_e32 v[10:11], 3, v[10:11]
	s_delay_alu instid0(VALU_DEP_4) | instskip(NEXT) | instid1(VALU_DEP_3)
	v_mad_co_u64_u32 v[12:13], null, s5, v14, v[1:2]
	v_mad_co_u64_u32 v[13:14], null, s4, v15, 0
	v_mov_b32_e32 v3, v7
	v_mov_b32_e32 v5, v2
	v_add_co_u32 v10, vcc_lo, v17, v10
	s_wait_alu 0xfffd
	v_add_co_ci_u32_e32 v11, vcc_lo, v43, v11, vcc_lo
	v_mad_co_u64_u32 v[2:3], null, s5, v16, v[3:4]
	v_lshlrev_b64_e32 v[4:5], 3, v[4:5]
	v_mov_b32_e32 v1, v12
	v_dual_fmac_f32 v22, v76, v60 :: v_dual_mov_b32 v3, v14
	s_delay_alu instid0(VALU_DEP_4)
	v_mov_b32_e32 v7, v2
	global_store_b64 v[10:11], v[22:23], off
	v_mad_co_u64_u32 v[10:11], null, s5, v15, v[3:4]
	v_lshlrev_b64_e32 v[0:1], 3, v[0:1]
	v_add_co_u32 v2, vcc_lo, v17, v4
	s_wait_alu 0xfffd
	v_add_co_ci_u32_e32 v3, vcc_lo, v43, v5, vcc_lo
	v_lshlrev_b64_e32 v[4:5], 3, v[6:7]
	v_mov_b32_e32 v14, v10
	v_add_co_u32 v0, vcc_lo, v17, v0
	s_wait_alu 0xfffd
	v_add_co_ci_u32_e32 v1, vcc_lo, v43, v1, vcc_lo
	s_delay_alu instid0(VALU_DEP_3) | instskip(SKIP_3) | instid1(VALU_DEP_3)
	v_lshlrev_b64_e32 v[6:7], 3, v[13:14]
	v_add_co_u32 v4, vcc_lo, v17, v4
	s_wait_alu 0xfffd
	v_add_co_ci_u32_e32 v5, vcc_lo, v43, v5, vcc_lo
	v_add_co_u32 v6, vcc_lo, v17, v6
	s_wait_alu 0xfffd
	v_add_co_ci_u32_e32 v7, vcc_lo, v43, v7, vcc_lo
	s_clause 0x3
	global_store_b64 v[2:3], v[8:9], off
	global_store_b64 v[0:1], v[20:21], off
	;; [unrolled: 1-line block ×4, first 2 shown]
.LBB0_20:
	s_nop 0
	s_sendmsg sendmsg(MSG_DEALLOC_VGPRS)
	s_endpgm
	.section	.rodata,"a",@progbits
	.p2align	6, 0x0
	.amdhsa_kernel fft_rtc_back_len240_factors_2_3_4_5_2_wgs_140_tpt_20_dim3_sp_ip_CI_sbcc_twdbase8_3step_dirReg
		.amdhsa_group_segment_fixed_size 0
		.amdhsa_private_segment_fixed_size 0
		.amdhsa_kernarg_size 88
		.amdhsa_user_sgpr_count 2
		.amdhsa_user_sgpr_dispatch_ptr 0
		.amdhsa_user_sgpr_queue_ptr 0
		.amdhsa_user_sgpr_kernarg_segment_ptr 1
		.amdhsa_user_sgpr_dispatch_id 0
		.amdhsa_user_sgpr_private_segment_size 0
		.amdhsa_wavefront_size32 1
		.amdhsa_uses_dynamic_stack 0
		.amdhsa_enable_private_segment 0
		.amdhsa_system_sgpr_workgroup_id_x 1
		.amdhsa_system_sgpr_workgroup_id_y 0
		.amdhsa_system_sgpr_workgroup_id_z 0
		.amdhsa_system_sgpr_workgroup_info 0
		.amdhsa_system_vgpr_workitem_id 0
		.amdhsa_next_free_vgpr 95
		.amdhsa_next_free_sgpr 25
		.amdhsa_reserve_vcc 1
		.amdhsa_float_round_mode_32 0
		.amdhsa_float_round_mode_16_64 0
		.amdhsa_float_denorm_mode_32 3
		.amdhsa_float_denorm_mode_16_64 3
		.amdhsa_fp16_overflow 0
		.amdhsa_workgroup_processor_mode 1
		.amdhsa_memory_ordered 1
		.amdhsa_forward_progress 0
		.amdhsa_round_robin_scheduling 0
		.amdhsa_exception_fp_ieee_invalid_op 0
		.amdhsa_exception_fp_denorm_src 0
		.amdhsa_exception_fp_ieee_div_zero 0
		.amdhsa_exception_fp_ieee_overflow 0
		.amdhsa_exception_fp_ieee_underflow 0
		.amdhsa_exception_fp_ieee_inexact 0
		.amdhsa_exception_int_div_zero 0
	.end_amdhsa_kernel
	.text
.Lfunc_end0:
	.size	fft_rtc_back_len240_factors_2_3_4_5_2_wgs_140_tpt_20_dim3_sp_ip_CI_sbcc_twdbase8_3step_dirReg, .Lfunc_end0-fft_rtc_back_len240_factors_2_3_4_5_2_wgs_140_tpt_20_dim3_sp_ip_CI_sbcc_twdbase8_3step_dirReg
                                        ; -- End function
	.section	.AMDGPU.csdata,"",@progbits
; Kernel info:
; codeLenInByte = 10700
; NumSgprs: 27
; NumVgprs: 95
; ScratchSize: 0
; MemoryBound: 0
; FloatMode: 240
; IeeeMode: 1
; LDSByteSize: 0 bytes/workgroup (compile time only)
; SGPRBlocks: 3
; VGPRBlocks: 11
; NumSGPRsForWavesPerEU: 27
; NumVGPRsForWavesPerEU: 95
; Occupancy: 15
; WaveLimiterHint : 1
; COMPUTE_PGM_RSRC2:SCRATCH_EN: 0
; COMPUTE_PGM_RSRC2:USER_SGPR: 2
; COMPUTE_PGM_RSRC2:TRAP_HANDLER: 0
; COMPUTE_PGM_RSRC2:TGID_X_EN: 1
; COMPUTE_PGM_RSRC2:TGID_Y_EN: 0
; COMPUTE_PGM_RSRC2:TGID_Z_EN: 0
; COMPUTE_PGM_RSRC2:TIDIG_COMP_CNT: 0
	.text
	.p2alignl 7, 3214868480
	.fill 96, 4, 3214868480
	.type	__hip_cuid_b2caf7e86ab63d15,@object ; @__hip_cuid_b2caf7e86ab63d15
	.section	.bss,"aw",@nobits
	.globl	__hip_cuid_b2caf7e86ab63d15
__hip_cuid_b2caf7e86ab63d15:
	.byte	0                               ; 0x0
	.size	__hip_cuid_b2caf7e86ab63d15, 1

	.ident	"AMD clang version 19.0.0git (https://github.com/RadeonOpenCompute/llvm-project roc-6.4.0 25133 c7fe45cf4b819c5991fe208aaa96edf142730f1d)"
	.section	".note.GNU-stack","",@progbits
	.addrsig
	.addrsig_sym __hip_cuid_b2caf7e86ab63d15
	.amdgpu_metadata
---
amdhsa.kernels:
  - .args:
      - .actual_access:  read_only
        .address_space:  global
        .offset:         0
        .size:           8
        .value_kind:     global_buffer
      - .address_space:  global
        .offset:         8
        .size:           8
        .value_kind:     global_buffer
      - .actual_access:  read_only
        .address_space:  global
        .offset:         16
        .size:           8
        .value_kind:     global_buffer
      - .actual_access:  read_only
        .address_space:  global
        .offset:         24
        .size:           8
        .value_kind:     global_buffer
      - .offset:         32
        .size:           8
        .value_kind:     by_value
      - .actual_access:  read_only
        .address_space:  global
        .offset:         40
        .size:           8
        .value_kind:     global_buffer
      - .actual_access:  read_only
        .address_space:  global
        .offset:         48
        .size:           8
        .value_kind:     global_buffer
      - .offset:         56
        .size:           4
        .value_kind:     by_value
      - .actual_access:  read_only
        .address_space:  global
        .offset:         64
        .size:           8
        .value_kind:     global_buffer
      - .actual_access:  read_only
        .address_space:  global
        .offset:         72
        .size:           8
        .value_kind:     global_buffer
      - .address_space:  global
        .offset:         80
        .size:           8
        .value_kind:     global_buffer
    .group_segment_fixed_size: 0
    .kernarg_segment_align: 8
    .kernarg_segment_size: 88
    .language:       OpenCL C
    .language_version:
      - 2
      - 0
    .max_flat_workgroup_size: 140
    .name:           fft_rtc_back_len240_factors_2_3_4_5_2_wgs_140_tpt_20_dim3_sp_ip_CI_sbcc_twdbase8_3step_dirReg
    .private_segment_fixed_size: 0
    .sgpr_count:     27
    .sgpr_spill_count: 0
    .symbol:         fft_rtc_back_len240_factors_2_3_4_5_2_wgs_140_tpt_20_dim3_sp_ip_CI_sbcc_twdbase8_3step_dirReg.kd
    .uniform_work_group_size: 1
    .uses_dynamic_stack: false
    .vgpr_count:     95
    .vgpr_spill_count: 0
    .wavefront_size: 32
    .workgroup_processor_mode: 1
amdhsa.target:   amdgcn-amd-amdhsa--gfx1201
amdhsa.version:
  - 1
  - 2
...

	.end_amdgpu_metadata
